;; amdgpu-corpus repo=ROCm/aiter kind=harvested arch=n/a opt=n/a

/root/src/amdgpu-assembly/repos/ROCm__aiter/hsa/gfx942/fmha_v3_bwd/bwd_hd128_bf16_causal_a32_rtz_pssk_group.co:	file format elf64-amdgpu

Disassembly of section .text:

0000000000003e00 <_ZN5aiter45fmha_bwd_hd128_bf16_causal_a32_rtz_pssk_groupE>:
	s_and_b32 s1, s1, 0xffff                                   // 000000003E00: 8601FF01 0000FFFF
	s_load_dwordx2 s[32:33], s[0:1], 0x0                       // 000000003E08: C0060800 00000000
	s_load_dwordx2 s[36:37], s[0:1], 0x10                      // 000000003E10: C0060900 00000010
	s_load_dwordx2 s[40:41], s[0:1], 0x20                      // 000000003E18: C0060A00 00000020
	s_load_dwordx2 s[8:9], s[0:1], 0x30                        // 000000003E20: C0060200 00000030
	s_load_dwordx2 s[12:13], s[0:1], 0x40                      // 000000003E28: C0060300 00000040
	s_load_dwordx2 s[16:17], s[0:1], 0x50                      // 000000003E30: C0060400 00000050
	s_load_dwordx2 s[20:21], s[0:1], 0x60                      // 000000003E38: C0060500 00000060
	s_load_dwordx2 s[24:25], s[0:1], 0x70                      // 000000003E40: C0060600 00000070
	s_load_dwordx2 s[28:29], s[0:1], 0x80                      // 000000003E48: C0060700 00000080
	s_load_dword s47, s[0:1], 0x90                             // 000000003E50: C0020BC0 00000090
	s_load_dword s48, s[0:1], 0xa0                             // 000000003E58: C0020C00 000000A0
	s_load_dword s78, s[0:1], 0xd0                             // 000000003E60: C0021380 000000D0
	s_load_dword s5, s[0:1], 0xf0                              // 000000003E68: C0020140 000000F0
	s_load_dword s44, s[0:1], 0x100                            // 000000003E70: C0020B00 00000100
	s_load_dword s79, s[0:1], 0x110                            // 000000003E78: C00213C0 00000110
	s_load_dword s6, s[0:1], 0x130                             // 000000003E80: C0020180 00000130
	s_load_dword s52, s[0:1], 0x140                            // 000000003E88: C0020D00 00000140
	s_load_dword s50, s[0:1], 0x160                            // 000000003E90: C0020C80 00000160
	s_load_dword s80, s[0:1], 0x190                            // 000000003E98: C0021400 00000190
	s_load_dword s7, s[0:1], 0x1b0                             // 000000003EA0: C00201C0 000001B0
	s_load_dword s81, s[0:1], 0x1c0                            // 000000003EA8: C0021440 000001C0
	s_load_dword s51, s[0:1], 0x1e0                            // 000000003EB0: C0020CC0 000001E0
	s_load_dword s82, s[0:1], 0x1f0                            // 000000003EB8: C0021480 000001F0
	s_load_dword s83, s[0:1], 0x210                            // 000000003EC0: C00214C0 00000210
	s_load_dword s53, s[0:1], 0x230                            // 000000003EC8: C0020D40 00000230
	s_load_dword s49, s[0:1], 0x240                            // 000000003ED0: C0020C40 00000240
	s_load_dwordx2 s[88:89], s[0:1], 0x250                     // 000000003ED8: C0061600 00000250
	s_load_dwordx2 s[92:93], s[0:1], 0x260                     // 000000003EE0: C0061700 00000260
	s_load_dwordx2 s[96:97], s[0:1], 0x270                     // 000000003EE8: C0061800 00000270
	s_load_dwordx2 s[100:101], s[0:1], 0x280                   // 000000003EF0: C0061900 00000280
	v_lshrrev_b32_e32 v1, 10, v0                               // 000000003EF8: 2002008A
	v_lshrrev_b32_e32 v2, 10, v1                               // 000000003EFC: 2004028A
	v_and_b32_e32 v2, 0x3ff, v2                                // 000000003F00: 260404FF 000003FF
	v_and_b32_e32 v1, 0x3ff, v1                                // 000000003F08: 260202FF 000003FF
	v_and_b32_e32 v0, 0x3ff, v0                                // 000000003F10: 260000FF 000003FF
	v_lshrrev_b32_e32 v3, 6, v0                                // 000000003F18: 20060086
	v_and_b32_e32 v0, 63, v0                                   // 000000003F1C: 260000BF
	s_mov_b32 s2, s2                                           // 000000003F20: BE820002
	s_mov_b32 s3, s3                                           // 000000003F24: BE830003
	s_mov_b32 s4, s4                                           // 000000003F28: BE840004
	v_readfirstlane_b32 s46, v3                                // 000000003F2C: 7E5C0503
	s_waitcnt lgkmcnt(0)                                       // 000000003F30: BF8CC07F
	s_mul_i32 s60, s4, 4                                       // 000000003F34: 923C8404
	s_add_u32 s88, s60, s88                                    // 000000003F38: 8058583C
	s_addc_u32 s89, 0, s89                                     // 000000003F3C: 82595980
	s_load_dwordx2 s[84:85], s[88:89], 0x0                     // 000000003F40: C006152C 00000000
	s_add_u32 s96, s60, s96                                    // 000000003F48: 8060603C
	s_addc_u32 s97, 0, s97                                     // 000000003F4C: 82616180
	s_load_dword s90, s[96:97], 0x0                            // 000000003F50: C00216B0 00000000
	s_add_u32 s92, s60, s92                                    // 000000003F58: 805C5C3C
	s_addc_u32 s93, 0, s93                                     // 000000003F5C: 825D5D80
	s_load_dwordx2 s[86:87], s[92:93], 0x0                     // 000000003F60: C00615AE 00000000
	s_add_u32 s100, s60, s100                                  // 000000003F68: 8064643C
	s_addc_u32 s101, 0, s101                                   // 000000003F6C: 82656580
	s_load_dword s94, s[100:101], 0x0                          // 000000003F70: C00217B2 00000000
	s_mov_b32 s11, 0x20000                                     // 000000003F78: BE8B00FF 00020000
	s_mov_b32 s15, 0x20000                                     // 000000003F80: BE8F00FF 00020000
	s_mov_b32 s19, 0x20000                                     // 000000003F88: BE9300FF 00020000
	s_mov_b32 s23, 0x20000                                     // 000000003F90: BE9700FF 00020000
	s_mov_b32 s27, 0x20000                                     // 000000003F98: BE9B00FF 00020000
	s_mov_b32 s31, 0x20000                                     // 000000003FA0: BE9F00FF 00020000
	s_mov_b32 s35, 0x20000                                     // 000000003FA8: BEA300FF 00020000
	s_mov_b32 s39, 0x20000                                     // 000000003FB0: BEA700FF 00020000
	s_mov_b32 s43, 0x20000                                     // 000000003FB8: BEAB00FF 00020000
	s_and_b32 s9, s9, 0xffff                                   // 000000003FC0: 8609FF09 0000FFFF
	s_and_b32 s13, s13, 0xffff                                 // 000000003FC8: 860DFF0D 0000FFFF
	s_and_b32 s17, s17, 0xffff                                 // 000000003FD0: 8611FF11 0000FFFF
	s_and_b32 s21, s21, 0xffff                                 // 000000003FD8: 8615FF15 0000FFFF
	s_and_b32 s25, s25, 0xffff                                 // 000000003FE0: 8619FF19 0000FFFF
	s_and_b32 s29, s29, 0xffff                                 // 000000003FE8: 861DFF1D 0000FFFF
	s_and_b32 s33, s33, 0xffff                                 // 000000003FF0: 8621FF21 0000FFFF
	s_and_b32 s37, s37, 0xffff                                 // 000000003FF8: 8625FF25 0000FFFF
	s_and_b32 s41, s41, 0xffff                                 // 000000004000: 8629FF29 0000FFFF
	s_or_b32 s9, s9, 0x40000                                   // 000000004008: 8709FF09 00040000
	s_or_b32 s13, s13, 0x40000                                 // 000000004010: 870DFF0D 00040000
	s_or_b32 s17, s17, 0x40000                                 // 000000004018: 8711FF11 00040000
	s_or_b32 s21, s21, 0x40000                                 // 000000004020: 8715FF15 00040000
	s_or_b32 s25, s25, 0x40000                                 // 000000004028: 8719FF19 00040000
	s_or_b32 s29, s29, 0x40000                                 // 000000004030: 871DFF1D 00040000
	s_or_b32 s33, s33, 0x40000                                 // 000000004038: 8721FF21 00040000
	s_or_b32 s37, s37, 0x40000                                 // 000000004040: 8725FF25 00040000
	s_or_b32 s41, s41, 0x40000                                 // 000000004048: 8729FF29 00040000
	v_accvgpr_write_b32 a255, 0                                // 000000004050: D3D940FF 18000080
	v_mov_b32_e32 v255, 0                                      // 000000004058: 7FFE0280
	s_mov_b32 s71, s3                                          // 00000000405C: BEC70003
	v_cvt_f32_u32_e32 v28, s44                                 // 000000004060: 7E380C2C
	s_sub_i32 s60, 0, s44                                      // 000000004064: 81BC2C80
	v_rcp_iflag_f32_e32 v28, v28                               // 000000004068: 7E38471C
	s_nop 0                                                    // 00000000406C: BF800000
	v_mul_f32_e32 v28, 0x4f7ffffe, v28                         // 000000004070: 0A3838FF 4F7FFFFE
	v_cvt_u32_f32_e32 v28, v28                                 // 000000004078: 7E380F1C
	v_mul_lo_u32 v29, s60, v28                                 // 00000000407C: D285001D 0002383C
	v_mul_hi_u32 v29, v28, v29                                 // 000000004084: D286001D 00023B1C
	v_add_u32_e32 v28, v28, v29                                // 00000000408C: 68383B1C
	v_mul_hi_u32 v28, s71, v28                                 // 000000004090: D286001C 00023847
	v_mul_lo_u32 v29, v28, s44                                 // 000000004098: D285001D 0000591C
	v_sub_u32_e32 v31, s71, v29                                // 0000000040A0: 6A3E3A47
	v_add_u32_e32 v30, 1, v28                                  // 0000000040A4: 683C3881
	v_cmp_le_u32_e32 vcc, s44, v31                             // 0000000040A8: 7D963E2C
	v_subrev_u32_e32 v29, s44, v31                             // 0000000040AC: 6C3A3E2C
	s_nop 0                                                    // 0000000040B0: BF800000
	v_cndmask_b32_e32 v28, v28, v30, vcc                       // 0000000040B4: 00383D1C
	v_cndmask_b32_e32 v31, v31, v29, vcc                       // 0000000040B8: 003E3B1F
	v_add_u32_e32 v29, 1, v28                                  // 0000000040BC: 683A3881
	v_cmp_le_u32_e32 vcc, s44, v31                             // 0000000040C0: 7D963E2C
	s_nop 1                                                    // 0000000040C4: BF800001
	v_cndmask_b32_e32 v31, v28, v29, vcc                       // 0000000040C8: 003E3B1C
	s_nop 3                                                    // 0000000040CC: BF800003
	v_readfirstlane_b32 s45, v31                               // 0000000040D0: 7E5A051F
	s_nop 3                                                    // 0000000040D4: BF800003
	s_waitcnt lgkmcnt(0)                                       // 0000000040D8: BF8CC07F
	s_mul_i32 s61, s2, 0x180                                   // 0000000040DC: 923DFF02 00000180
	s_sub_i32 s87, s87, s86                                    // 0000000040E4: 81D75657
	s_mov_b32 s86, s94                                         // 0000000040E8: BED6005E
	s_sub_i32 s85, s85, s84                                    // 0000000040EC: 81D55455
	s_mov_b32 s84, s90                                         // 0000000040F0: BED4005A
	s_cmp_gt_i32 s85, 0                                        // 0000000040F4: BF028055
	s_cbranch_scc0 label_1EDF                                  // 0000000040F8: BF841E0C
	s_mov_b32 s59, 0                                           // 0000000040FC: BEBB0080
	s_mov_b32 s58, s85                                         // 000000004100: BEBA0055
	s_cmp_ge_i32 s61, s87                                      // 000000004104: BF03573D
	s_cbranch_scc1 label_1EDF                                  // 000000004108: BF851E08
	s_mul_i32 s61, s45, s79                                    // 00000000410C: 923D4F2D
	s_mov_b32 s54, s61                                         // 000000004110: BEB6003D
	s_add_u32 s12, s54, s12                                    // 000000004114: 800C0C36
	s_addc_u32 s13, 0, s13                                     // 000000004118: 820D0D80
	s_mul_i32 s60, s86, s6                                     // 00000000411C: 923C0656
	s_mul_hi_u32 s61, s86, s6                                  // 000000004120: 963D0656
	s_and_b32 s61, s61, 0xffff                                 // 000000004124: 863DFF3D 0000FFFF
	s_add_u32 s12, s12, s60                                    // 00000000412C: 800C3C0C
	s_addc_u32 s13, s13, s61                                   // 000000004130: 820D3D0D
	s_mul_i32 s61, s45, s80                                    // 000000004134: 923D502D
	s_mov_b32 s54, s61                                         // 000000004138: BEB6003D
	s_add_u32 s16, s54, s16                                    // 00000000413C: 80101036
	s_addc_u32 s17, 0, s17                                     // 000000004140: 82111180
	s_mul_i32 s60, s86, s7                                     // 000000004144: 923C0756
	s_mul_hi_u32 s61, s86, s7                                  // 000000004148: 963D0756
	s_and_b32 s61, s61, 0xffff                                 // 00000000414C: 863DFF3D 0000FFFF
	s_add_u32 s16, s16, s60                                    // 000000004154: 80103C10
	s_addc_u32 s17, s17, s61                                   // 000000004158: 82113D11
	s_mul_i32 s61, s3, s78                                     // 00000000415C: 923D4E03
	s_mov_b32 s55, s61                                         // 000000004160: BEB7003D
	s_add_u32 s8, s55, s8                                      // 000000004164: 80080837
	s_addc_u32 s9, 0, s9                                       // 000000004168: 82090980
	s_mul_i32 s60, s84, s5                                     // 00000000416C: 923C0554
	s_mul_hi_u32 s61, s84, s5                                  // 000000004170: 963D0554
	s_and_b32 s61, s61, 0xffff                                 // 000000004174: 863DFF3D 0000FFFF
	s_add_u32 s8, s8, s60                                      // 00000000417C: 80083C08
	s_addc_u32 s9, s9, s61                                     // 000000004180: 82093D09
	s_mul_i32 s61, s3, s81                                     // 000000004184: 923D5103
	s_mov_b32 s56, s61                                         // 000000004188: BEB8003D
	s_add_u32 s20, s56, s20                                    // 00000000418C: 80141438
	s_addc_u32 s21, 0, s21                                     // 000000004190: 82151580
	s_mul_i32 s60, s84, s51                                    // 000000004194: 923C3354
	s_mul_hi_u32 s61, s84, s51                                 // 000000004198: 963D3354
	s_and_b32 s61, s61, 0xffff                                 // 00000000419C: 863DFF3D 0000FFFF
	s_add_u32 s20, s20, s60                                    // 0000000041A4: 80143C14
	s_addc_u32 s21, s21, s61                                   // 0000000041A8: 82153D15
	s_mul_i32 s62, 4, s84                                      // 0000000041AC: 923E5484
	s_mul_i32 s61, s3, s49                                     // 0000000041B0: 923D3103
	s_add_u32 s65, s61, s62                                    // 0000000041B4: 80413E3D
	s_mov_b32 s26, s85                                         // 0000000041B8: BE9A0055
	s_mov_b32 s30, s85                                         // 0000000041BC: BE9E0055
	s_add_u32 s24, s65, s24                                    // 0000000041C0: 80181841
	s_addc_u32 s25, 0, s25                                     // 0000000041C4: 82191980
	s_add_u32 s28, s65, s28                                    // 0000000041C8: 801C1C41
	s_addc_u32 s29, 0, s29                                     // 0000000041CC: 821D1D80
	s_mul_i32 s61, s3, s82                                     // 0000000041D0: 923D5203
	s_mul_i32 s62, s86, s52                                    // 0000000041D4: 923E3456
	s_add_u32 s60, s61, s62                                    // 0000000041D8: 803C3E3D
	s_mul_hi_u32 s61, s86, s52                                 // 0000000041DC: 963D3456
	s_and_b32 s61, s61, 0xffff                                 // 0000000041E0: 863DFF3D 0000FFFF
	s_add_u32 s36, s60, s36                                    // 0000000041E8: 8024243C
	s_addc_u32 s37, s61, s37                                   // 0000000041EC: 8225253D
	s_mul_i32 s60, s87, s52                                    // 0000000041F0: 923C3457
	s_lshr_b32 s60, s60, 2                                     // 0000000041F4: 8F3C823C
	s_mov_b32 s38, s60                                         // 0000000041F8: BEA6003C
	s_mul_i32 s61, s3, s83                                     // 0000000041FC: 923D5303
	s_mul_i32 s62, s86, s53                                    // 000000004200: 923E3556
	s_add_u32 s60, s61, s62                                    // 000000004204: 803C3E3D
	s_mul_hi_u32 s61, s86, s53                                 // 000000004208: 963D3556
	s_and_b32 s61, s61, 0xffff                                 // 00000000420C: 863DFF3D 0000FFFF
	s_add_u32 s40, s60, s40                                    // 000000004214: 8028283C
	s_addc_u32 s41, s61, s41                                   // 000000004218: 8229293D
	s_mul_i32 s60, s87, s53                                    // 00000000421C: 923C3557
	s_lshr_b32 s60, s60, 2                                     // 000000004220: 8F3C823C
	s_mov_b32 s42, s60                                         // 000000004224: BEAA003C
	s_mul_i32 s60, s50, s65                                    // 000000004228: 923C4132
	s_mul_hi_u32 s62, s50, s65                                 // 00000000422C: 963E4132
	s_and_b32 s62, s62, 0xffff                                 // 000000004230: 863EFF3E 0000FFFF
	s_add_u32 s32, s60, s32                                    // 000000004238: 8020203C
	s_addc_u32 s33, s62, s33                                   // 00000000423C: 8221213E
	s_mul_i32 s60, s50, s85                                    // 000000004240: 923C5532
	s_lshl_b32 s60, s60, 2                                     // 000000004244: 8E3C823C
	s_mov_b32 s34, s60                                         // 000000004248: BEA2003C
	s_mov_b32 s90, s8                                          // 00000000424C: BEDA0008
	s_mov_b32 s94, s12                                         // 000000004250: BEDE000C
	s_mov_b32 s96, s16                                         // 000000004254: BEE00010
	s_mov_b32 s98, s20                                         // 000000004258: BEE20014
	s_mov_b32 s91, s9                                          // 00000000425C: BEDB0009
	s_mov_b32 s95, s13                                         // 000000004260: BEDF000D
	s_mov_b32 s97, s17                                         // 000000004264: BEE10011
	s_mov_b32 s99, s21                                         // 000000004268: BEE30015
	s_add_u32 s71, 0xbf, s87                                   // 00000000426C: 804757FF 000000BF
	s_mov_b32 s74, 0xc0                                        // 000000004274: BECA00FF 000000C0
	v_cvt_f32_u32_e32 v28, s74                                 // 00000000427C: 7E380C4A
	s_sub_i32 s60, 0, s74                                      // 000000004280: 81BC4A80
	v_rcp_iflag_f32_e32 v28, v28                               // 000000004284: 7E38471C
	s_nop 0                                                    // 000000004288: BF800000
	v_mul_f32_e32 v28, 0x4f7ffffe, v28                         // 00000000428C: 0A3838FF 4F7FFFFE
	v_cvt_u32_f32_e32 v28, v28                                 // 000000004294: 7E380F1C
	v_mul_lo_u32 v29, s60, v28                                 // 000000004298: D285001D 0002383C
	v_mul_hi_u32 v29, v28, v29                                 // 0000000042A0: D286001D 00023B1C
	v_add_u32_e32 v28, v28, v29                                // 0000000042A8: 68383B1C
	v_mul_hi_u32 v28, s71, v28                                 // 0000000042AC: D286001C 00023847
	v_mul_lo_u32 v29, v28, s74                                 // 0000000042B4: D285001D 0000951C
	v_sub_u32_e32 v31, s71, v29                                // 0000000042BC: 6A3E3A47
	v_add_u32_e32 v30, 1, v28                                  // 0000000042C0: 683C3881
	v_cmp_le_u32_e32 vcc, s74, v31                             // 0000000042C4: 7D963E4A
	v_subrev_u32_e32 v29, s74, v31                             // 0000000042C8: 6C3A3E4A
	s_nop 0                                                    // 0000000042CC: BF800000
	v_cndmask_b32_e32 v28, v28, v30, vcc                       // 0000000042D0: 00383D1C
	v_cndmask_b32_e32 v31, v31, v29, vcc                       // 0000000042D4: 003E3B1F
	v_add_u32_e32 v29, 1, v28                                  // 0000000042D8: 683A3881
	v_cmp_le_u32_e32 vcc, s74, v31                             // 0000000042DC: 7D963E4A
	s_nop 1                                                    // 0000000042E0: BF800001
	v_cndmask_b32_e32 v31, v28, v29, vcc                       // 0000000042E4: 003E3B1C
	s_nop 3                                                    // 0000000042E8: BF800003
	v_readfirstlane_b32 s77, v31                               // 0000000042EC: 7E9A051F
	s_nop 3                                                    // 0000000042F0: BF800003
	v_mov_b32_e32 v28, s47                                     // 0000000042F4: 7E38022F
	v_mul_f32_e32 v28, s48, v28                                // 0000000042F8: 0A383830
	s_mov_b32 s63, 0x5040100                                   // 0000000042FC: BEBF00FF 05040100
	s_mov_b32 s64, 0x7060302                                   // 000000004304: BEC000FF 07060302
	v_readfirstlane_b32 s57, v28                               // 00000000430C: 7E72051C
	v_mov_b32_e32 v30, 0x3020706                               // 000000004310: 7E3C02FF 03020706
	v_mov_b32_e32 v28, s63                                     // 000000004318: 7E38023F
	v_and_b32_e32 v29, 1, v0                                   // 00000000431C: 263A0081
	v_cmp_eq_u32_e32 vcc, 1, v29                               // 000000004320: 7D943A81
	s_mul_i32 s60, s50, 64                                     // 000000004324: 923CC032
	s_mov_b32 s67, s60                                         // 000000004328: BEC3003C
	v_cndmask_b32_e32 v15, v28, v30, vcc                       // 00000000432C: 001E3D1C
	v_mov_b32_e32 v249, 0xffff0000                             // 000000004330: 7FF202FF FFFF0000
	v_mov_b32_e32 v250, 0x7fff0000                             // 000000004338: 7FF402FF 7FFF0000
	v_mov_b32_e32 v251, 0x7fff                                 // 000000004340: 7FF602FF 00007FFF
	s_cmp_lt_u32 s46, 2                                        // 000000004348: BF0A822E
	s_cselect_b32 s24, s24, s28                                // 00000000434C: 85181C18
	s_cselect_b32 s25, s25, s29                                // 000000004350: 85191D19
	s_cselect_b32 s26, s26, s30                                // 000000004354: 851A1E1A
	s_cselect_b32 s27, s27, s31                                // 000000004358: 851B1F1B
	s_lshr_b32 s60, s46, 1                                     // 00000000435C: 8F3C812E
	s_lshl_b32 s60, s60, 8                                     // 000000004360: 8E3C883C
	s_add_u32 s80, 0xc600, s60                                 // 000000004364: 80503CFF 0000C600
	s_add_u32 s81, 0x200, s80                                  // 00000000436C: 805150FF 00000200
	s_mov_b32 s75, 0                                           // 000000004374: BECB0080
	s_mov_b32 s76, 1                                           // 000000004378: BECC0081
	s_lshl_b32 s60, s2, 1                                      // 00000000437C: 8E3C8102
	s_add_u32 s60, 1, s60                                      // 000000004380: 803C3C81
	s_cmp_ge_i32 s60, s77                                      // 000000004384: BF034D3C
	s_cselect_b32 s76, s76, 2                                  // 000000004388: 854C824C

000000000000438c <label_0163>:
	s_mov_b32 m0, s80                                          // 00000000438C: BEFC0050
	s_mov_b32 s66, 0                                           // 000000004390: BEC20080
	v_mov_b32_e32 v151, 0xff800000                             // 000000004394: 7F2E02FF FF800000
	s_mov_b32 s74, 0                                           // 00000000439C: BECA0080
	s_mul_i32 s68, 4, s5                                       // 0000000043A0: 92440584
	s_mul_i32 s100, 4, s51                                     // 0000000043A4: 92643384
	s_mov_b32 s69, 16                                          // 0000000043A8: BEC50090
	s_mul_i32 s59, 0xc0, s2                                    // 0000000043AC: 923B02FF 000000C0
	s_mul_i32 s54, s6, s59                                     // 0000000043B4: 92363B06
	s_sub_i32 s61, s87, s59                                    // 0000000043B8: 81BD3B57
	s_mul_i32 s62, s6, s61                                     // 0000000043BC: 923E3D06
	s_lshr_b32 s62, s62, 2                                     // 0000000043C0: 8F3E823E
	s_mov_b32 s14, s62                                         // 0000000043C4: BE8E003E
	s_add_u32 s12, s54, s94                                    // 0000000043C8: 800C5E36
	s_addc_u32 s13, 0, s95                                     // 0000000043CC: 820D5F80
	s_mul_i32 s54, s7, s59                                     // 0000000043D0: 92363B07
	s_mul_i32 s62, s7, s61                                     // 0000000043D4: 923E3D07
	s_lshr_b32 s62, s62, 2                                     // 0000000043D8: 8F3E823E
	s_mov_b32 s18, s62                                         // 0000000043DC: BE92003E
	s_add_u32 s16, s54, s96                                    // 0000000043E0: 80106036
	s_addc_u32 s17, 0, s97                                     // 0000000043E4: 82116180
	s_mov_b32 s71, s6                                          // 0000000043E8: BEC70006
	v_lshrrev_b32_e32 v28, 4, v0                               // 0000000043EC: 20380084
	v_and_b32_e32 v29, 1, v28                                  // 0000000043F0: 263A3881
	v_lshlrev_b32_e32 v29, 1, v29                              // 0000000043F4: 243A3A81
	v_mul_i32_i24_e32 v29, s71, v29                            // 0000000043F8: 0C3A3A47
	v_and_b32_e32 v30, 2, v28                                  // 0000000043FC: 263C3882
	v_lshlrev_b32_e32 v30, 5, v30                              // 000000004400: 243C3C85
	v_add_u32_e32 v29, v30, v29                                // 000000004404: 683A3B1E
	v_and_b32_e32 v28, 15, v0                                  // 000000004408: 2638008F
	v_lshlrev_b32_e32 v28, 2, v28                              // 00000000440C: 24383882
	v_add_u32_e32 v1, v28, v29                                 // 000000004410: 68023B1C
	s_and_b32 s60, 1, s46                                      // 000000004414: 863C2E81
	s_mul_i32 s60, s60, s71                                    // 000000004418: 923C473C
	s_mul_i32 s60, s60, 8                                      // 00000000441C: 923C883C
	s_lshr_b32 s61, s46, 1                                     // 000000004420: 8F3D812E
	s_mul_i32 s61, s61, 0x80                                   // 000000004424: 923DFF3D 00000080
	s_add_u32 s60, s60, s61                                    // 00000000442C: 803C3D3C
	v_add_u32_e32 v1, s60, v1                                  // 000000004430: 6802023C
	v_add_u32_e32 v2, s71, v1                                  // 000000004434: 68040247
	s_mul_i32 s60, 4, s71                                      // 000000004438: 923C4784
	v_add_u32_e32 v3, s60, v1                                  // 00000000443C: 6806023C
	v_add_u32_e32 v4, s60, v2                                  // 000000004440: 6808043C
	s_mov_b32 s71, s7                                          // 000000004444: BEC70007
	v_lshrrev_b32_e32 v28, 4, v0                               // 000000004448: 20380084
	v_and_b32_e32 v29, 1, v28                                  // 00000000444C: 263A3881
	v_lshlrev_b32_e32 v29, 1, v29                              // 000000004450: 243A3A81
	v_mul_i32_i24_e32 v29, s71, v29                            // 000000004454: 0C3A3A47
	v_and_b32_e32 v30, 2, v28                                  // 000000004458: 263C3882
	v_lshlrev_b32_e32 v30, 5, v30                              // 00000000445C: 243C3C85
	v_add_u32_e32 v29, v30, v29                                // 000000004460: 683A3B1E
	v_and_b32_e32 v28, 15, v0                                  // 000000004464: 2638008F
	v_lshlrev_b32_e32 v28, 2, v28                              // 000000004468: 24383882
	v_add_u32_e32 v252, v28, v29                               // 00000000446C: 69F83B1C
	s_and_b32 s60, 1, s46                                      // 000000004470: 863C2E81
	s_mul_i32 s60, s60, s71                                    // 000000004474: 923C473C
	s_mul_i32 s60, s60, 8                                      // 000000004478: 923C883C
	s_lshr_b32 s61, s46, 1                                     // 00000000447C: 8F3D812E
	s_mul_i32 s61, s61, 0x80                                   // 000000004480: 923DFF3D 00000080
	s_add_u32 s60, s60, s61                                    // 000000004488: 803C3D3C
	v_add_u32_e32 v252, s60, v252                              // 00000000448C: 69F9F83C
	v_add_u32_e32 v253, s71, v252                              // 000000004490: 69FBF847
	s_mul_i32 s60, 4, s71                                      // 000000004494: 923C4784
	v_add_u32_e32 v254, s60, v252                              // 000000004498: 69FDF83C
	v_add_u32_e32 v255, s60, v253                              // 00000000449C: 69FFFA3C
	v_lshrrev_b32_e32 v1, 2, v1                                // 0000000044A0: 20020282
	v_lshrrev_b32_e32 v2, 2, v2                                // 0000000044A4: 20040482
	v_lshrrev_b32_e32 v3, 2, v3                                // 0000000044A8: 20060682
	v_lshrrev_b32_e32 v4, 2, v4                                // 0000000044AC: 20080882
	v_lshrrev_b32_e32 v252, 2, v252                            // 0000000044B0: 21F9F882
	v_lshrrev_b32_e32 v253, 2, v253                            // 0000000044B4: 21FBFA82
	v_lshrrev_b32_e32 v254, 2, v254                            // 0000000044B8: 21FDFC82
	v_lshrrev_b32_e32 v255, 2, v255                            // 0000000044BC: 21FFFE82
	s_mov_b32 s70, s52                                         // 0000000044C0: BEC60034
	v_lshrrev_b32_e32 v28, 4, v0                               // 0000000044C4: 20380084
	v_mul_i32_i24_e32 v5, s70, v28                             // 0000000044C8: 0C0A3846
	v_lshrrev_b32_e32 v5, 2, v5                                // 0000000044CC: 200A0A82
	v_and_b32_e32 v28, 15, v0                                  // 0000000044D0: 2638008F
	v_lshlrev_b32_e32 v29, 2, v28                              // 0000000044D4: 243A3882
	v_add_u32_e32 v5, v29, v5                                  // 0000000044D8: 680A0B1D
	s_mul_i32 s60, 16, s70                                     // 0000000044DC: 923C4690
	s_mul_i32 s60, s46, s60                                    // 0000000044E0: 923C3C2E
	v_lshlrev_b32_e32 v5, 2, v5                                // 0000000044E4: 240A0A82
	v_add_u32_e32 v5, s60, v5                                  // 0000000044E8: 680A0A3C
	s_mul_i32 s60, s52, s59                                    // 0000000044EC: 923C3B34
	v_add_u32_e32 v5, s60, v5                                  // 0000000044F0: 680A0A3C
	v_lshrrev_b32_e32 v5, 2, v5                                // 0000000044F4: 200A0A82
	s_mov_b32 s70, s53                                         // 0000000044F8: BEC60035
	v_lshrrev_b32_e32 v28, 4, v0                               // 0000000044FC: 20380084
	v_mul_i32_i24_e32 v6, s70, v28                             // 000000004500: 0C0C3846
	v_lshrrev_b32_e32 v6, 2, v6                                // 000000004504: 200C0C82
	v_and_b32_e32 v28, 15, v0                                  // 000000004508: 2638008F
	v_lshlrev_b32_e32 v29, 2, v28                              // 00000000450C: 243A3882
	v_add_u32_e32 v6, v29, v6                                  // 000000004510: 680C0D1D
	s_mul_i32 s60, 16, s70                                     // 000000004514: 923C4690
	s_mul_i32 s60, s46, s60                                    // 000000004518: 923C3C2E
	v_lshlrev_b32_e32 v6, 2, v6                                // 00000000451C: 240C0C82
	v_add_u32_e32 v6, s60, v6                                  // 000000004520: 680C0C3C
	s_mul_i32 s60, s53, s59                                    // 000000004524: 923C3B35
	v_add_u32_e32 v6, s60, v6                                  // 000000004528: 680C0C3C
	v_lshrrev_b32_e32 v6, 2, v6                                // 00000000452C: 200C0C82
	s_cmp_ge_i32 s59, s85                                      // 000000004530: BF03553B
	s_cselect_b32 s59, s85, s59                                // 000000004534: 853B3B55
	s_add_u32 s73, 16, s59                                     // 000000004538: 80493B90
	s_mul_i32 s55, s5, s59                                     // 00000000453C: 92373B05
	s_sub_i32 s61, s85, s59                                    // 000000004540: 81BD3B55
	s_mul_i32 s62, s5, s61                                     // 000000004544: 923E3D05
	s_lshr_b32 s62, s62, 2                                     // 000000004548: 8F3E823E
	s_mov_b32 s10, s62                                         // 00000000454C: BE8A003E
	s_add_u32 s8, s55, s90                                     // 000000004550: 80085A37
	s_addc_u32 s9, 0, s91                                      // 000000004554: 82095B80
	s_mul_i32 s56, s51, s59                                    // 000000004558: 92383B33
	s_mul_i32 s62, s51, s61                                    // 00000000455C: 923E3D33
	s_lshr_b32 s62, s62, 2                                     // 000000004560: 8F3E823E
	s_mov_b32 s22, s62                                         // 000000004564: BE96003E
	s_add_u32 s20, s56, s98                                    // 000000004568: 80146238
	s_addc_u32 s21, 0, s99                                     // 00000000456C: 82156380
	s_mul_i32 s65, s59, 4                                      // 000000004570: 9241843B
	v_and_b32_e32 v9, 15, v0                                   // 000000004574: 2612008F
	v_lshlrev_b32_e32 v9, 2, v9                                // 000000004578: 24121282
	v_add_u32_e32 v9, s65, v9                                  // 00000000457C: 68121241
	v_lshrrev_b32_e32 v9, 2, v9                                // 000000004580: 20121282
	v_lshrrev_b32_e32 v28, 5, v0                               // 000000004584: 20380085
	v_mul_i32_i24_e64 v29, s50, 2                              // 000000004588: D106001D 00010432
	v_mul_i32_i24_e32 v7, v29, v28                             // 000000004590: 0C0E391D
	v_and_b32_e32 v28, 31, v0                                  // 000000004594: 2638009F
	v_add_u32_e32 v7, v28, v7                                  // 000000004598: 680E0F1C
	s_mul_i32 s60, 4, s50                                      // 00000000459C: 923C3284
	s_mul_i32 s60, s46, s60                                    // 0000000045A0: 923C3C2E
	v_add_u32_e32 v7, s60, v7                                  // 0000000045A4: 680E0E3C
	v_lshlrev_b32_e32 v7, 2, v7                                // 0000000045A8: 240E0E82
	v_mul_i32_i24_e32 v29, 2, v29                              // 0000000045AC: 0C3A3A82
	v_add_u32_e32 v8, v29, v7                                  // 0000000045B0: 68100F1D
	s_mul_i32 s60, s50, s65                                    // 0000000045B4: 923C4132
	v_add_u32_e32 v7, s60, v7                                  // 0000000045B8: 680E0E3C
	v_add_u32_e32 v8, s60, v8                                  // 0000000045BC: 6810103C
	s_mul_i32 s60, 3, s2                                       // 0000000045C0: 923C0283
	s_add_u32 s61, s87, 63                                     // 0000000045C4: 803DBF57
	s_lshr_b32 s61, s61, 6                                     // 0000000045C8: 8F3D863D
	s_sub_i32 s72, s61, s60                                    // 0000000045CC: 81C83C3D
	s_cmp_lt_i32 s72, 3                                        // 0000000045D0: BF048348
	s_cselect_b32 s72, s72, 3                                  // 0000000045D4: 85488348
	s_mul_i32 s60, 0xc0, s2                                    // 0000000045D8: 923C02FF 000000C0
	s_sub_i32 s84, s87, s60                                    // 0000000045E0: 81D43C57
	v_and_b32_e32 v28, 31, v0                                  // 0000000045E4: 2638009F
	v_lshrrev_b32_e32 v28, 1, v28                              // 0000000045E8: 20383881
	v_and_b32_e32 v29, 1, v28                                  // 0000000045EC: 263A3881
	v_lshlrev_b32_e32 v29, 4, v29                              // 0000000045F0: 243A3A84
	v_and_b32_e32 v30, 2, v28                                  // 0000000045F4: 263C3882
	v_lshlrev_b32_e32 v30, 2, v30                              // 0000000045F8: 243C3C82
	v_add_u32_e32 v29, v30, v29                                // 0000000045FC: 683A3B1E
	v_and_b32_e32 v30, 12, v28                                 // 000000004600: 263C388C
	v_lshrrev_b32_e32 v30, 1, v30                              // 000000004604: 203C3C81
	v_add_u32_e32 v29, v30, v29                                // 000000004608: 683A3B1E
	v_lshrrev_b32_e32 v28, 5, v0                               // 00000000460C: 20380085
	v_mul_i32_i24_e32 v30, 0x80, v28                           // 000000004610: 0C3C38FF 00000080
	v_add_u32_e32 v29, v30, v29                                // 000000004618: 683A3B1E
	v_and_b32_e32 v30, 1, v0                                   // 00000000461C: 263C0081
	v_add_u32_e32 v11, v30, v29                                // 000000004620: 68163B1E
	s_and_b32 s60, 1, s46                                      // 000000004624: 863C2E81
	s_mul_i32 s60, s60, 64                                     // 000000004628: 923CC03C
	s_lshr_b32 s61, s46, 1                                     // 00000000462C: 8F3D812E
	s_mul_i32 s61, s61, 0x220                                  // 000000004630: 923DFF3D 00000220
	s_add_u32 s60, s60, s61                                    // 000000004638: 803C3D3C
	v_add_u32_e32 v11, s60, v11                                // 00000000463C: 6816163C
	v_lshlrev_b32_e32 v11, 2, v11                              // 000000004640: 24161682
	v_lshrrev_b32_e32 v28, 4, v0                               // 000000004644: 20380084
	v_and_b32_e32 v29, 1, v28                                  // 000000004648: 263A3881
	v_lshlrev_b32_e32 v29, 4, v29                              // 00000000464C: 243A3A84
	v_and_b32_e32 v30, 2, v28                                  // 000000004650: 263C3882
	v_mul_i32_i24_e32 v30, 4, v30                              // 000000004654: 0C3C3C84
	v_add_u32_e32 v29, v30, v29                                // 000000004658: 683A3B1E
	v_and_b32_e32 v28, 15, v0                                  // 00000000465C: 2638008F
	v_lshrrev_b32_e32 v30, 2, v28                              // 000000004660: 203C3882
	v_lshlrev_b32_e32 v30, 5, v30                              // 000000004664: 243C3C85
	v_add_u32_e32 v29, v30, v29                                // 000000004668: 683A3B1E
	v_and_b32_e32 v28, 3, v0                                   // 00000000466C: 26380083
	v_and_b32_e32 v30, 1, v28                                  // 000000004670: 263C3881
	v_mul_i32_i24_e32 v30, 0x108, v30                          // 000000004674: 0C3C3CFF 00000108
	v_add_u32_e32 v29, v30, v29                                // 00000000467C: 683A3B1E
	v_and_b32_e32 v30, 2, v28                                  // 000000004680: 263C3882
	v_lshlrev_b32_e32 v30, 1, v30                              // 000000004684: 243C3C81
	v_add_u32_e32 v10, v30, v29                                // 000000004688: 68143B1E
	v_lshlrev_b32_e32 v10, 2, v10                              // 00000000468C: 24141482
	s_mul_i32 s60, s46, 0x1100                                 // 000000004690: 923CFF2E 00001100
	v_add_u32_e32 v22, s60, v10                                // 000000004698: 682C143C
	v_lshrrev_b32_e32 v28, 5, v0                               // 00000000469C: 20380085
	v_mul_i32_i24_e32 v13, 0x80, v28                           // 0000000046A0: 0C1A38FF 00000080
	v_and_b32_e32 v28, 31, v0                                  // 0000000046A8: 2638009F
	v_and_b32_e32 v29, 7, v28                                  // 0000000046AC: 263A3887
	v_and_b32_e32 v30, 1, v29                                  // 0000000046B0: 263C3A81
	v_lshlrev_b32_e32 v30, 2, v30                              // 0000000046B4: 243C3C82
	v_add_u32_e32 v13, v30, v13                                // 0000000046B8: 681A1B1E
	v_and_b32_e32 v30, 2, v29                                  // 0000000046BC: 263C3A82
	v_lshlrev_b32_e32 v30, 3, v30                              // 0000000046C0: 243C3C83
	v_add_u32_e32 v13, v30, v13                                // 0000000046C4: 681A1B1E
	v_and_b32_e32 v30, 4, v29                                  // 0000000046C8: 263C3A84
	v_lshlrev_b32_e32 v30, 1, v30                              // 0000000046CC: 243C3C81
	v_add_u32_e32 v13, v30, v13                                // 0000000046D0: 681A1B1E
	v_lshrrev_b32_e32 v29, 3, v28                              // 0000000046D4: 203A3883
	v_and_b32_e32 v30, 1, v29                                  // 0000000046D8: 263C3A81
	v_lshlrev_b32_e32 v30, 1, v30                              // 0000000046DC: 243C3C81
	v_add_u32_e32 v13, v30, v13                                // 0000000046E0: 681A1B1E
	v_and_b32_e32 v30, 2, v29                                  // 0000000046E4: 263C3A82
	v_lshrrev_b32_e32 v30, 1, v30                              // 0000000046E8: 203C3C81
	v_add_u32_e32 v13, v30, v13                                // 0000000046EC: 681A1B1E
	s_and_b32 s60, 1, s46                                      // 0000000046F0: 863C2E81
	s_mul_i32 s60, s60, 64                                     // 0000000046F4: 923CC03C
	s_lshr_b32 s61, s46, 1                                     // 0000000046F8: 8F3D812E
	s_mul_i32 s61, s61, 0x220                                  // 0000000046FC: 923DFF3D 00000220
	s_add_u32 s60, s60, s61                                    // 000000004704: 803C3D3C
	v_add_u32_e32 v13, s60, v13                                // 000000004708: 681A1A3C
	v_lshlrev_b32_e32 v13, 2, v13                              // 00000000470C: 241A1A82
	v_and_b32_e32 v28, 15, v0                                  // 000000004710: 2638008F
	v_and_b32_e32 v30, 1, v28                                  // 000000004714: 263C3881
	v_mul_i32_i24_e32 v12, 0x108, v30                          // 000000004718: 0C183CFF 00000108
	v_and_b32_e32 v30, 2, v28                                  // 000000004720: 263C3882
	v_lshlrev_b32_e32 v30, 1, v30                              // 000000004724: 243C3C81
	v_add_u32_e32 v12, v30, v12                                // 000000004728: 6818191E
	v_and_b32_e32 v30, 4, v28                                  // 00000000472C: 263C3884
	v_lshlrev_b32_e32 v30, 2, v30                              // 000000004730: 243C3C82
	v_add_u32_e32 v12, v30, v12                                // 000000004734: 6818191E
	v_and_b32_e32 v30, 8, v28                                  // 000000004738: 263C3888
	v_add_u32_e32 v12, v30, v12                                // 00000000473C: 6818191E
	v_lshrrev_b32_e32 v28, 4, v0                               // 000000004740: 20380084
	v_and_b32_e32 v30, 1, v28                                  // 000000004744: 263C3881
	v_lshlrev_b32_e32 v30, 5, v30                              // 000000004748: 243C3C85
	v_add_u32_e32 v12, v30, v12                                // 00000000474C: 6818191E
	v_and_b32_e32 v29, 2, v28                                  // 000000004750: 263A3882
	v_mul_i32_i24_e32 v30, 32, v29                             // 000000004754: 0C3C3AA0
	v_mul_i32_i24_e32 v29, 0x220, v29                          // 000000004758: 0C3A3AFF 00000220
	v_add_u32_e32 v23, v29, v12                                // 000000004760: 682E191D
	v_add_u32_e32 v12, v30, v12                                // 000000004764: 6818191E
	v_lshlrev_b32_e32 v12, 2, v12                              // 000000004768: 24181882
	v_lshlrev_b32_e32 v23, 2, v23                              // 00000000476C: 242E2E82
	s_and_b32 s60, 1, s46                                      // 000000004770: 863C2E81
	s_mul_i32 s60, s60, 0x200                                  // 000000004774: 923CFF3C 00000200
	s_lshr_b32 s61, s46, 1                                     // 00000000477C: 8F3D812E
	s_mul_i32 s61, s61, 0x880                                  // 000000004780: 923DFF3D 00000880
	s_add_u32 s60, s60, s61                                    // 000000004788: 803C3D3C
	v_add_u32_e32 v23, s60, v23                                // 00000000478C: 682E2E3C
	v_lshrrev_b32_e32 v28, 4, v0                               // 000000004790: 20380084
	v_mul_i32_i24_e32 v21, 4, v28                              // 000000004794: 0C2A3884
	v_and_b32_e32 v29, 3, v0                                   // 000000004798: 263A0083
	v_add_u32_e32 v21, v29, v21                                // 00000000479C: 682A2B1D
	v_lshlrev_b32_e32 v21, 2, v21                              // 0000000047A0: 242A2A82
	v_lshrrev_b32_e32 v28, 4, v0                               // 0000000047A4: 20380084
	v_and_b32_e32 v29, 1, v28                                  // 0000000047A8: 263A3881
	v_mul_i32_i24_e32 v19, 0x100, v29                          // 0000000047AC: 0C263AFF 00000100
	v_and_b32_e32 v29, 2, v28                                  // 0000000047B4: 263A3882
	v_mul_i32_i24_e32 v29, 64, v29                             // 0000000047B8: 0C3A3AC0
	v_add_u32_e32 v19, v29, v19                                // 0000000047BC: 6826271D
	v_and_b32_e32 v28, 15, v0                                  // 0000000047C0: 2638008F
	v_mul_i32_i24_e32 v29, 2, v28                              // 0000000047C4: 0C3A3882
	v_add_u32_e32 v19, v29, v19                                // 0000000047C8: 6826271D
	s_mul_i32 s60, s46, 32                                     // 0000000047CC: 923CA02E
	v_add_u32_e32 v19, s60, v19                                // 0000000047D0: 6826263C
	v_lshlrev_b32_e32 v19, 2, v19                              // 0000000047D4: 24262682
	v_lshlrev_b32_e32 v20, 1, v0                               // 0000000047D8: 24280081
	s_mul_i32 s60, s46, 0x200                                  // 0000000047DC: 923CFF2E 00000200
	v_add_u32_e32 v20, s60, v20                                // 0000000047E4: 6828283C
	v_lshlrev_b32_e32 v20, 2, v20                              // 0000000047E8: 24282882
	v_lshrrev_b32_e32 v28, 5, v0                               // 0000000047EC: 20380085
	v_mul_i32_i24_e32 v17, 64, v28                             // 0000000047F0: 0C2238C0
	v_and_b32_e32 v28, 31, v0                                  // 0000000047F4: 2638009F
	v_and_b32_e32 v28, 3, v28                                  // 0000000047F8: 26383883
	v_and_b32_e32 v29, 1, v28                                  // 0000000047FC: 263A3881
	v_mul_i32_i24_e32 v29, 4, v29                              // 000000004800: 0C3A3A84
	v_add_u32_e32 v17, v29, v17                                // 000000004804: 6822231D
	v_and_b32_e32 v29, 2, v28                                  // 000000004808: 263A3882
	v_mul_i32_i24_e32 v29, 0x44, v29                           // 00000000480C: 0C3A3AFF 00000044
	v_add_u32_e32 v17, v29, v17                                // 000000004814: 6822231D
	v_and_b32_e32 v28, 31, v0                                  // 000000004818: 2638009F
	v_lshrrev_b32_e32 v28, 2, v28                              // 00000000481C: 20383882
	v_lshrrev_b32_e32 v30, 2, v28                              // 000000004820: 203C3882
	v_mul_i32_i24_e32 v29, 16, v30                             // 000000004824: 0C3A3C90
	v_add_u32_e32 v17, v29, v17                                // 000000004828: 6822231D
	v_and_b32_e32 v29, 2, v28                                  // 00000000482C: 263A3882
	v_lshlrev_b32_e32 v29, 4, v29                              // 000000004830: 243A3A84
	v_add_u32_e32 v17, v29, v17                                // 000000004834: 6822231D
	v_and_b32_e32 v29, 1, v28                                  // 000000004838: 263A3881
	v_xor_b32_e32 v29, v30, v29                                // 00000000483C: 2A3A3B1E
	v_mul_i32_i24_e32 v29, 8, v29                              // 000000004840: 0C3A3A88
	v_add_u32_e32 v17, v29, v17                                // 000000004844: 6822231D
	v_lshlrev_b32_e32 v17, 2, v17                              // 000000004848: 24222282
	v_lshrrev_b32_e32 v28, 5, v0                               // 00000000484C: 20380085
	v_mul_i32_i24_e32 v18, 32, v28                             // 000000004850: 0C2438A0
	v_and_b32_e32 v28, 31, v0                                  // 000000004854: 2638009F
	v_and_b32_e32 v28, 3, v28                                  // 000000004858: 26383883
	v_and_b32_e32 v29, 1, v28                                  // 00000000485C: 263A3881
	v_mul_i32_i24_e32 v29, 4, v29                              // 000000004860: 0C3A3A84
	v_add_u32_e32 v18, v29, v18                                // 000000004864: 6824251D
	v_and_b32_e32 v29, 2, v28                                  // 000000004868: 263A3882
	v_lshrrev_b32_e32 v29, 1, v29                              // 00000000486C: 203A3A81
	v_add_u32_e32 v18, v29, v18                                // 000000004870: 6824251D
	v_and_b32_e32 v28, 31, v0                                  // 000000004874: 2638009F
	v_lshrrev_b32_e32 v28, 2, v28                              // 000000004878: 20383882
	v_and_b32_e32 v30, 1, v28                                  // 00000000487C: 263C3881
	v_mul_i32_i24_e32 v29, 16, v30                             // 000000004880: 0C3A3C90
	v_add_u32_e32 v18, v29, v18                                // 000000004884: 6824251D
	v_and_b32_e32 v29, 2, v28                                  // 000000004888: 263A3882
	v_add_u32_e32 v18, v29, v18                                // 00000000488C: 6824251D
	v_lshrrev_b32_e32 v29, 2, v28                              // 000000004890: 203A3882
	v_xor_b32_e32 v29, v30, v29                                // 000000004894: 2A3A3B1E
	v_mul_i32_i24_e32 v29, 8, v29                              // 000000004898: 0C3A3A88
	v_add_u32_e32 v18, v29, v18                                // 00000000489C: 6824251D
	s_and_b32 s60, 1, s46                                      // 0000000048A0: 863C2E81
	s_mul_i32 s60, s60, 64                                     // 0000000048A4: 923CC03C
	s_lshr_b32 s61, s46, 1                                     // 0000000048A8: 8F3D812E
	s_mul_i32 s61, s61, 0x120                                  // 0000000048AC: 923DFF3D 00000120
	s_add_u32 s60, s60, s61                                    // 0000000048B4: 803C3D3C
	v_add_u32_e32 v18, s60, v18                                // 0000000048B8: 6824243C
	v_lshlrev_b32_e32 v18, 2, v18                              // 0000000048BC: 24242482
	buffer_load_dword v152, v1, s[12:15], 0 idxen              // 0000000048C0: E0502000 80039801
	buffer_load_dword v153, v2, s[12:15], 0 idxen              // 0000000048C8: E0502000 80039902
	buffer_load_dword v154, v3, s[12:15], 0 idxen              // 0000000048D0: E0502000 80039A03
	buffer_load_dword v155, v4, s[12:15], 0 idxen              // 0000000048D8: E0502000 80039B04
	s_mul_i32 s60, 4, s6                                       // 0000000048E0: 923C0684
	s_cmp_lt_i32 0, s72                                        // 0000000048E4: BF044880
	s_cselect_b32 s60, s60, 0                                  // 0000000048E8: 853C803C
	v_add_u32_e32 v1, s60, v1                                  // 0000000048EC: 6802023C
	v_add_u32_e32 v2, s60, v2                                  // 0000000048F0: 6804043C
	v_add_u32_e32 v3, s60, v3                                  // 0000000048F4: 6806063C
	v_add_u32_e32 v4, s60, v4                                  // 0000000048F8: 6808083C
	buffer_load_dword v156, v1, s[12:15], 0 idxen              // 0000000048FC: E0502000 80039C01
	buffer_load_dword v157, v2, s[12:15], 0 idxen              // 000000004904: E0502000 80039D02
	buffer_load_dword v158, v3, s[12:15], 0 idxen              // 00000000490C: E0502000 80039E03
	buffer_load_dword v159, v4, s[12:15], 0 idxen              // 000000004914: E0502000 80039F04
	s_mul_i32 s60, 4, s6                                       // 00000000491C: 923C0684
	s_cmp_lt_i32 0, s72                                        // 000000004920: BF044880
	s_cselect_b32 s60, s60, 0                                  // 000000004924: 853C803C
	v_add_u32_e32 v1, s60, v1                                  // 000000004928: 6802023C
	v_add_u32_e32 v2, s60, v2                                  // 00000000492C: 6804043C
	v_add_u32_e32 v3, s60, v3                                  // 000000004930: 6806063C
	v_add_u32_e32 v4, s60, v4                                  // 000000004934: 6808083C
	buffer_load_dword v160, v1, s[12:15], 0 idxen              // 000000004938: E0502000 8003A001
	buffer_load_dword v161, v2, s[12:15], 0 idxen              // 000000004940: E0502000 8003A102
	buffer_load_dword v162, v3, s[12:15], 0 idxen              // 000000004948: E0502000 8003A203
	buffer_load_dword v163, v4, s[12:15], 0 idxen              // 000000004950: E0502000 8003A304
	s_mul_i32 s60, 4, s6                                       // 000000004958: 923C0684
	s_cmp_lt_i32 0, s72                                        // 00000000495C: BF044880
	s_cselect_b32 s60, s60, 0                                  // 000000004960: 853C803C
	v_add_u32_e32 v1, s60, v1                                  // 000000004964: 6802023C
	v_add_u32_e32 v2, s60, v2                                  // 000000004968: 6804043C
	v_add_u32_e32 v3, s60, v3                                  // 00000000496C: 6806063C
	v_add_u32_e32 v4, s60, v4                                  // 000000004970: 6808083C
	buffer_load_dword v164, v1, s[12:15], 0 idxen              // 000000004974: E0502000 8003A401
	buffer_load_dword v165, v2, s[12:15], 0 idxen              // 00000000497C: E0502000 8003A502
	buffer_load_dword v166, v3, s[12:15], 0 idxen              // 000000004984: E0502000 8003A603
	buffer_load_dword v167, v4, s[12:15], 0 idxen              // 00000000498C: E0502000 8003A704
	s_mul_i32 s60, 4, s6                                       // 000000004994: 923C0684
	s_cmp_lt_i32 1, s72                                        // 000000004998: BF044881
	s_cselect_b32 s60, s60, 0                                  // 00000000499C: 853C803C
	v_add_u32_e32 v1, s60, v1                                  // 0000000049A0: 6802023C
	v_add_u32_e32 v2, s60, v2                                  // 0000000049A4: 6804043C
	v_add_u32_e32 v3, s60, v3                                  // 0000000049A8: 6806063C
	v_add_u32_e32 v4, s60, v4                                  // 0000000049AC: 6808083C
	buffer_load_dword v168, v1, s[12:15], 0 idxen              // 0000000049B0: E0502000 8003A801
	buffer_load_dword v169, v2, s[12:15], 0 idxen              // 0000000049B8: E0502000 8003A902
	buffer_load_dword v170, v3, s[12:15], 0 idxen              // 0000000049C0: E0502000 8003AA03
	buffer_load_dword v171, v4, s[12:15], 0 idxen              // 0000000049C8: E0502000 8003AB04
	s_mul_i32 s60, 4, s6                                       // 0000000049D0: 923C0684
	s_cmp_lt_i32 1, s72                                        // 0000000049D4: BF044881
	s_cselect_b32 s60, s60, 0                                  // 0000000049D8: 853C803C
	v_add_u32_e32 v1, s60, v1                                  // 0000000049DC: 6802023C
	v_add_u32_e32 v2, s60, v2                                  // 0000000049E0: 6804043C
	v_add_u32_e32 v3, s60, v3                                  // 0000000049E4: 6806063C
	v_add_u32_e32 v4, s60, v4                                  // 0000000049E8: 6808083C
	buffer_load_dword v172, v1, s[12:15], 0 idxen              // 0000000049EC: E0502000 8003AC01
	buffer_load_dword v173, v2, s[12:15], 0 idxen              // 0000000049F4: E0502000 8003AD02
	buffer_load_dword v174, v3, s[12:15], 0 idxen              // 0000000049FC: E0502000 8003AE03
	buffer_load_dword v175, v4, s[12:15], 0 idxen              // 000000004A04: E0502000 8003AF04
	s_mul_i32 s60, 4, s6                                       // 000000004A0C: 923C0684
	s_cmp_lt_i32 1, s72                                        // 000000004A10: BF044881
	s_cselect_b32 s60, s60, 0                                  // 000000004A14: 853C803C
	v_add_u32_e32 v1, s60, v1                                  // 000000004A18: 6802023C
	v_add_u32_e32 v2, s60, v2                                  // 000000004A1C: 6804043C
	v_add_u32_e32 v3, s60, v3                                  // 000000004A20: 6806063C
	v_add_u32_e32 v4, s60, v4                                  // 000000004A24: 6808083C
	buffer_load_dword v176, v1, s[12:15], 0 idxen              // 000000004A28: E0502000 8003B001
	buffer_load_dword v177, v2, s[12:15], 0 idxen              // 000000004A30: E0502000 8003B102
	buffer_load_dword v178, v3, s[12:15], 0 idxen              // 000000004A38: E0502000 8003B203
	buffer_load_dword v179, v4, s[12:15], 0 idxen              // 000000004A40: E0502000 8003B304
	s_mul_i32 s60, 4, s6                                       // 000000004A48: 923C0684
	s_cmp_lt_i32 1, s72                                        // 000000004A4C: BF044881
	s_cselect_b32 s60, s60, 0                                  // 000000004A50: 853C803C
	v_add_u32_e32 v1, s60, v1                                  // 000000004A54: 6802023C
	v_add_u32_e32 v2, s60, v2                                  // 000000004A58: 6804043C
	v_add_u32_e32 v3, s60, v3                                  // 000000004A5C: 6806063C
	v_add_u32_e32 v4, s60, v4                                  // 000000004A60: 6808083C
	buffer_load_dword v180, v1, s[12:15], 0 idxen              // 000000004A64: E0502000 8003B401
	buffer_load_dword v181, v2, s[12:15], 0 idxen              // 000000004A6C: E0502000 8003B502
	buffer_load_dword v182, v3, s[12:15], 0 idxen              // 000000004A74: E0502000 8003B603
	buffer_load_dword v183, v4, s[12:15], 0 idxen              // 000000004A7C: E0502000 8003B704
	s_mul_i32 s60, 4, s6                                       // 000000004A84: 923C0684
	s_cmp_lt_i32 2, s72                                        // 000000004A88: BF044882
	s_cselect_b32 s60, s60, 0                                  // 000000004A8C: 853C803C
	v_add_u32_e32 v1, s60, v1                                  // 000000004A90: 6802023C
	v_add_u32_e32 v2, s60, v2                                  // 000000004A94: 6804043C
	v_add_u32_e32 v3, s60, v3                                  // 000000004A98: 6806063C
	v_add_u32_e32 v4, s60, v4                                  // 000000004A9C: 6808083C
	buffer_load_dword v184, v1, s[12:15], 0 idxen              // 000000004AA0: E0502000 8003B801
	buffer_load_dword v185, v2, s[12:15], 0 idxen              // 000000004AA8: E0502000 8003B902
	buffer_load_dword v186, v3, s[12:15], 0 idxen              // 000000004AB0: E0502000 8003BA03
	buffer_load_dword v187, v4, s[12:15], 0 idxen              // 000000004AB8: E0502000 8003BB04
	s_mul_i32 s60, 4, s6                                       // 000000004AC0: 923C0684
	s_cmp_lt_i32 2, s72                                        // 000000004AC4: BF044882
	s_cselect_b32 s60, s60, 0                                  // 000000004AC8: 853C803C
	v_add_u32_e32 v1, s60, v1                                  // 000000004ACC: 6802023C
	v_add_u32_e32 v2, s60, v2                                  // 000000004AD0: 6804043C
	v_add_u32_e32 v3, s60, v3                                  // 000000004AD4: 6806063C
	v_add_u32_e32 v4, s60, v4                                  // 000000004AD8: 6808083C
	buffer_load_dword v188, v1, s[12:15], 0 idxen              // 000000004ADC: E0502000 8003BC01
	buffer_load_dword v189, v2, s[12:15], 0 idxen              // 000000004AE4: E0502000 8003BD02
	buffer_load_dword v190, v3, s[12:15], 0 idxen              // 000000004AEC: E0502000 8003BE03
	buffer_load_dword v191, v4, s[12:15], 0 idxen              // 000000004AF4: E0502000 8003BF04
	s_mul_i32 s60, 4, s6                                       // 000000004AFC: 923C0684
	s_cmp_lt_i32 2, s72                                        // 000000004B00: BF044882
	s_cselect_b32 s60, s60, 0                                  // 000000004B04: 853C803C
	v_add_u32_e32 v1, s60, v1                                  // 000000004B08: 6802023C
	v_add_u32_e32 v2, s60, v2                                  // 000000004B0C: 6804043C
	v_add_u32_e32 v3, s60, v3                                  // 000000004B10: 6806063C
	v_add_u32_e32 v4, s60, v4                                  // 000000004B14: 6808083C
	buffer_load_dword v192, v1, s[12:15], 0 idxen              // 000000004B18: E0502000 8003C001
	buffer_load_dword v193, v2, s[12:15], 0 idxen              // 000000004B20: E0502000 8003C102
	buffer_load_dword v194, v3, s[12:15], 0 idxen              // 000000004B28: E0502000 8003C203
	buffer_load_dword v195, v4, s[12:15], 0 idxen              // 000000004B30: E0502000 8003C304
	s_mul_i32 s60, 4, s6                                       // 000000004B38: 923C0684
	s_cmp_lt_i32 2, s72                                        // 000000004B3C: BF044882
	s_cselect_b32 s60, s60, 0                                  // 000000004B40: 853C803C
	v_add_u32_e32 v1, s60, v1                                  // 000000004B44: 6802023C
	v_add_u32_e32 v2, s60, v2                                  // 000000004B48: 6804043C
	v_add_u32_e32 v3, s60, v3                                  // 000000004B4C: 6806063C
	v_add_u32_e32 v4, s60, v4                                  // 000000004B50: 6808083C
	buffer_load_dword v196, v1, s[12:15], 0 idxen              // 000000004B54: E0502000 8003C401
	buffer_load_dword v197, v2, s[12:15], 0 idxen              // 000000004B5C: E0502000 8003C502
	buffer_load_dword v198, v3, s[12:15], 0 idxen              // 000000004B64: E0502000 8003C603
	buffer_load_dword v199, v4, s[12:15], 0 idxen              // 000000004B6C: E0502000 8003C704
	s_mul_i32 s60, 4, s6                                       // 000000004B74: 923C0684
	s_cmp_lt_i32 3, s72                                        // 000000004B78: BF044883
	s_cselect_b32 s60, s60, 0                                  // 000000004B7C: 853C803C
	v_add_u32_e32 v1, s60, v1                                  // 000000004B80: 6802023C
	v_add_u32_e32 v2, s60, v2                                  // 000000004B84: 6804043C
	v_add_u32_e32 v3, s60, v3                                  // 000000004B88: 6806063C
	v_add_u32_e32 v4, s60, v4                                  // 000000004B8C: 6808083C
	s_waitcnt vmcnt(32) lgkmcnt(0)                             // 000000004B90: BF8C8070
	s_barrier                                                  // 000000004B94: BF8A0000
	s_cmp_lt_i32 0, s72                                        // 000000004B98: BF044880
	s_cbranch_scc1 label_0378                                  // 000000004B9C: BF850010
	v_mov_b32_e32 v152, 0                                      // 000000004BA0: 7F300280
	v_mov_b32_e32 v153, 0                                      // 000000004BA4: 7F320280
	v_mov_b32_e32 v154, 0                                      // 000000004BA8: 7F340280
	v_mov_b32_e32 v155, 0                                      // 000000004BAC: 7F360280
	v_mov_b32_e32 v156, 0                                      // 000000004BB0: 7F380280
	v_mov_b32_e32 v157, 0                                      // 000000004BB4: 7F3A0280
	v_mov_b32_e32 v158, 0                                      // 000000004BB8: 7F3C0280
	v_mov_b32_e32 v159, 0                                      // 000000004BBC: 7F3E0280
	v_mov_b32_e32 v160, 0                                      // 000000004BC0: 7F400280
	v_mov_b32_e32 v161, 0                                      // 000000004BC4: 7F420280
	v_mov_b32_e32 v162, 0                                      // 000000004BC8: 7F440280
	v_mov_b32_e32 v163, 0                                      // 000000004BCC: 7F460280
	v_mov_b32_e32 v164, 0                                      // 000000004BD0: 7F480280
	v_mov_b32_e32 v165, 0                                      // 000000004BD4: 7F4A0280
	v_mov_b32_e32 v166, 0                                      // 000000004BD8: 7F4C0280
	v_mov_b32_e32 v167, 0                                      // 000000004BDC: 7F4E0280

0000000000004be0 <label_0378>:
	v_perm_b32 v200, v153, v152, s63                           // 000000004BE0: D1ED00C8 00FF3199
	v_perm_b32 v201, v153, v152, s64                           // 000000004BE8: D1ED00C9 01033199
	v_perm_b32 v202, v155, v154, s63                           // 000000004BF0: D1ED00CA 00FF359B
	v_perm_b32 v203, v155, v154, s64                           // 000000004BF8: D1ED00CB 0103359B
	v_perm_b32 v204, v157, v156, s63                           // 000000004C00: D1ED00CC 00FF399D
	v_perm_b32 v205, v157, v156, s64                           // 000000004C08: D1ED00CD 0103399D
	v_perm_b32 v206, v159, v158, s63                           // 000000004C10: D1ED00CE 00FF3D9F
	v_perm_b32 v207, v159, v158, s64                           // 000000004C18: D1ED00CF 01033D9F
	v_perm_b32 v208, v161, v160, s63                           // 000000004C20: D1ED00D0 00FF41A1
	v_perm_b32 v209, v161, v160, s64                           // 000000004C28: D1ED00D1 010341A1
	v_perm_b32 v210, v163, v162, s63                           // 000000004C30: D1ED00D2 00FF45A3
	v_perm_b32 v211, v163, v162, s64                           // 000000004C38: D1ED00D3 010345A3
	v_perm_b32 v212, v165, v164, s63                           // 000000004C40: D1ED00D4 00FF49A5
	v_perm_b32 v213, v165, v164, s64                           // 000000004C48: D1ED00D5 010349A5
	v_perm_b32 v214, v167, v166, s63                           // 000000004C50: D1ED00D6 00FF4DA7
	v_perm_b32 v215, v167, v166, s64                           // 000000004C58: D1ED00D7 01034DA7
	ds_write_b32 v13, v200 offset:17408                        // 000000004C60: D81A4400 0000C80D
	ds_write_b32 v13, v201 offset:18464                        // 000000004C68: D81A4820 0000C90D
	ds_write_b32 v13, v202 offset:17536                        // 000000004C70: D81A4480 0000CA0D
	ds_write_b32 v13, v203 offset:18592                        // 000000004C78: D81A48A0 0000CB0D
	ds_write_b32 v13, v204 offset:21760                        // 000000004C80: D81A5500 0000CC0D
	ds_write_b32 v13, v205 offset:22816                        // 000000004C88: D81A5920 0000CD0D
	ds_write_b32 v13, v206 offset:21888                        // 000000004C90: D81A5580 0000CE0D
	ds_write_b32 v13, v207 offset:22944                        // 000000004C98: D81A59A0 0000CF0D
	ds_write_b32 v13, v208 offset:26112                        // 000000004CA0: D81A6600 0000D00D
	ds_write_b32 v13, v209 offset:27168                        // 000000004CA8: D81A6A20 0000D10D
	ds_write_b32 v13, v210 offset:26240                        // 000000004CB0: D81A6680 0000D20D
	ds_write_b32 v13, v211 offset:27296                        // 000000004CB8: D81A6AA0 0000D30D
	ds_write_b32 v13, v212 offset:30464                        // 000000004CC0: D81A7700 0000D40D
	ds_write_b32 v13, v213 offset:31520                        // 000000004CC8: D81A7B20 0000D50D
	ds_write_b32 v13, v214 offset:30592                        // 000000004CD0: D81A7780 0000D60D
	ds_write_b32 v13, v215 offset:31648                        // 000000004CD8: D81A7BA0 0000D70D
	ds_write_b32 v11, v152                                     // 000000004CE0: D81A0000 0000980B
	ds_write_b32 v11, v153 offset:1056                         // 000000004CE8: D81A0420 0000990B
	ds_write_b32 v11, v154 offset:128                          // 000000004CF0: D81A0080 00009A0B
	ds_write_b32 v11, v155 offset:1184                         // 000000004CF8: D81A04A0 00009B0B
	ds_write_b32 v11, v156 offset:4352                         // 000000004D00: D81A1100 00009C0B
	ds_write_b32 v11, v157 offset:5408                         // 000000004D08: D81A1520 00009D0B
	ds_write_b32 v11, v158 offset:4480                         // 000000004D10: D81A1180 00009E0B
	ds_write_b32 v11, v159 offset:5536                         // 000000004D18: D81A15A0 00009F0B
	ds_write_b32 v11, v160 offset:8704                         // 000000004D20: D81A2200 0000A00B
	ds_write_b32 v11, v161 offset:9760                         // 000000004D28: D81A2620 0000A10B
	ds_write_b32 v11, v162 offset:8832                         // 000000004D30: D81A2280 0000A20B
	ds_write_b32 v11, v163 offset:9888                         // 000000004D38: D81A26A0 0000A30B
	ds_write_b32 v11, v164 offset:13056                        // 000000004D40: D81A3300 0000A40B
	ds_write_b32 v11, v165 offset:14112                        // 000000004D48: D81A3720 0000A50B
	ds_write_b32 v11, v166 offset:13184                        // 000000004D50: D81A3380 0000A60B
	ds_write_b32 v11, v167 offset:14240                        // 000000004D58: D81A37A0 0000A70B
	buffer_load_dword v152, v252, s[16:19], 0 idxen            // 000000004D60: E0502000 800498FC
	buffer_load_dword v153, v253, s[16:19], 0 idxen            // 000000004D68: E0502000 800499FD
	buffer_load_dword v154, v254, s[16:19], 0 idxen            // 000000004D70: E0502000 80049AFE
	buffer_load_dword v155, v255, s[16:19], 0 idxen            // 000000004D78: E0502000 80049BFF
	s_mul_i32 s60, 4, s7                                       // 000000004D80: 923C0784
	s_cmp_lt_i32 0, s72                                        // 000000004D84: BF044880
	s_cselect_b32 s60, s60, 0                                  // 000000004D88: 853C803C
	v_add_u32_e32 v252, s60, v252                              // 000000004D8C: 69F9F83C
	v_add_u32_e32 v253, s60, v253                              // 000000004D90: 69FBFA3C
	v_add_u32_e32 v254, s60, v254                              // 000000004D94: 69FDFC3C
	v_add_u32_e32 v255, s60, v255                              // 000000004D98: 69FFFE3C
	buffer_load_dword v156, v252, s[16:19], 0 idxen            // 000000004D9C: E0502000 80049CFC
	buffer_load_dword v157, v253, s[16:19], 0 idxen            // 000000004DA4: E0502000 80049DFD
	buffer_load_dword v158, v254, s[16:19], 0 idxen            // 000000004DAC: E0502000 80049EFE
	buffer_load_dword v159, v255, s[16:19], 0 idxen            // 000000004DB4: E0502000 80049FFF
	s_mul_i32 s60, 4, s7                                       // 000000004DBC: 923C0784
	s_cmp_lt_i32 0, s72                                        // 000000004DC0: BF044880
	s_cselect_b32 s60, s60, 0                                  // 000000004DC4: 853C803C
	v_add_u32_e32 v252, s60, v252                              // 000000004DC8: 69F9F83C
	v_add_u32_e32 v253, s60, v253                              // 000000004DCC: 69FBFA3C
	v_add_u32_e32 v254, s60, v254                              // 000000004DD0: 69FDFC3C
	v_add_u32_e32 v255, s60, v255                              // 000000004DD4: 69FFFE3C
	buffer_load_dword v160, v252, s[16:19], 0 idxen            // 000000004DD8: E0502000 8004A0FC
	buffer_load_dword v161, v253, s[16:19], 0 idxen            // 000000004DE0: E0502000 8004A1FD
	buffer_load_dword v162, v254, s[16:19], 0 idxen            // 000000004DE8: E0502000 8004A2FE
	buffer_load_dword v163, v255, s[16:19], 0 idxen            // 000000004DF0: E0502000 8004A3FF
	s_mul_i32 s60, 4, s7                                       // 000000004DF8: 923C0784
	s_cmp_lt_i32 0, s72                                        // 000000004DFC: BF044880
	s_cselect_b32 s60, s60, 0                                  // 000000004E00: 853C803C
	v_add_u32_e32 v252, s60, v252                              // 000000004E04: 69F9F83C
	v_add_u32_e32 v253, s60, v253                              // 000000004E08: 69FBFA3C
	v_add_u32_e32 v254, s60, v254                              // 000000004E0C: 69FDFC3C
	v_add_u32_e32 v255, s60, v255                              // 000000004E10: 69FFFE3C
	buffer_load_dword v164, v252, s[16:19], 0 idxen            // 000000004E14: E0502000 8004A4FC
	buffer_load_dword v165, v253, s[16:19], 0 idxen            // 000000004E1C: E0502000 8004A5FD
	buffer_load_dword v166, v254, s[16:19], 0 idxen            // 000000004E24: E0502000 8004A6FE
	buffer_load_dword v167, v255, s[16:19], 0 idxen            // 000000004E2C: E0502000 8004A7FF
	s_mul_i32 s60, 4, s7                                       // 000000004E34: 923C0784
	s_cmp_lt_i32 1, s72                                        // 000000004E38: BF044881
	s_cselect_b32 s60, s60, 0                                  // 000000004E3C: 853C803C
	v_add_u32_e32 v252, s60, v252                              // 000000004E40: 69F9F83C
	v_add_u32_e32 v253, s60, v253                              // 000000004E44: 69FBFA3C
	v_add_u32_e32 v254, s60, v254                              // 000000004E48: 69FDFC3C
	v_add_u32_e32 v255, s60, v255                              // 000000004E4C: 69FFFE3C
	s_waitcnt lgkmcnt(0)                                       // 000000004E50: BF8CC07F
	s_barrier                                                  // 000000004E54: BF8A0000
	ds_read_b128 a[48:51], v23 offset:17408                    // 000000004E58: DBFE4400 30000017
	ds_read_b128 a[52:55], v23 offset:17664                    // 000000004E60: DBFE4500 34000017
	ds_read_b128 a[56:59], v23 offset:26112                    // 000000004E68: DBFE6600 38000017
	ds_read_b128 a[60:63], v23 offset:26368                    // 000000004E70: DBFE6700 3C000017
	ds_read_b128 a[0:3], v22                                   // 000000004E78: DBFE0000 00000016
	ds_read_b128 a[4:7], v22 offset:512                        // 000000004E80: DBFE0200 04000016
	ds_read_b128 a[8:11], v22 offset:2176                      // 000000004E88: DBFE0880 08000016
	ds_read_b128 a[12:15], v22 offset:2688                     // 000000004E90: DBFE0A80 0C000016
	s_waitcnt vmcnt(32) lgkmcnt(0)                             // 000000004E98: BF8C8070
	s_barrier                                                  // 000000004E9C: BF8A0000
	s_cmp_lt_i32 1, s72                                        // 000000004EA0: BF044881
	s_cbranch_scc1 label_043A                                  // 000000004EA4: BF850010
	v_mov_b32_e32 v168, 0                                      // 000000004EA8: 7F500280
	v_mov_b32_e32 v169, 0                                      // 000000004EAC: 7F520280
	v_mov_b32_e32 v170, 0                                      // 000000004EB0: 7F540280
	v_mov_b32_e32 v171, 0                                      // 000000004EB4: 7F560280
	v_mov_b32_e32 v172, 0                                      // 000000004EB8: 7F580280
	v_mov_b32_e32 v173, 0                                      // 000000004EBC: 7F5A0280
	v_mov_b32_e32 v174, 0                                      // 000000004EC0: 7F5C0280
	v_mov_b32_e32 v175, 0                                      // 000000004EC4: 7F5E0280
	v_mov_b32_e32 v176, 0                                      // 000000004EC8: 7F600280
	v_mov_b32_e32 v177, 0                                      // 000000004ECC: 7F620280
	v_mov_b32_e32 v178, 0                                      // 000000004ED0: 7F640280
	v_mov_b32_e32 v179, 0                                      // 000000004ED4: 7F660280
	v_mov_b32_e32 v180, 0                                      // 000000004ED8: 7F680280
	v_mov_b32_e32 v181, 0                                      // 000000004EDC: 7F6A0280
	v_mov_b32_e32 v182, 0                                      // 000000004EE0: 7F6C0280
	v_mov_b32_e32 v183, 0                                      // 000000004EE4: 7F6E0280

0000000000004ee8 <label_043A>:
	v_perm_b32 v200, v169, v168, s63                           // 000000004EE8: D1ED00C8 00FF51A9
	v_perm_b32 v201, v169, v168, s64                           // 000000004EF0: D1ED00C9 010351A9
	v_perm_b32 v202, v171, v170, s63                           // 000000004EF8: D1ED00CA 00FF55AB
	v_perm_b32 v203, v171, v170, s64                           // 000000004F00: D1ED00CB 010355AB
	v_perm_b32 v204, v173, v172, s63                           // 000000004F08: D1ED00CC 00FF59AD
	v_perm_b32 v205, v173, v172, s64                           // 000000004F10: D1ED00CD 010359AD
	v_perm_b32 v206, v175, v174, s63                           // 000000004F18: D1ED00CE 00FF5DAF
	v_perm_b32 v207, v175, v174, s64                           // 000000004F20: D1ED00CF 01035DAF
	v_perm_b32 v208, v177, v176, s63                           // 000000004F28: D1ED00D0 00FF61B1
	v_perm_b32 v209, v177, v176, s64                           // 000000004F30: D1ED00D1 010361B1
	v_perm_b32 v210, v179, v178, s63                           // 000000004F38: D1ED00D2 00FF65B3
	v_perm_b32 v211, v179, v178, s64                           // 000000004F40: D1ED00D3 010365B3
	v_perm_b32 v212, v181, v180, s63                           // 000000004F48: D1ED00D4 00FF69B5
	v_perm_b32 v213, v181, v180, s64                           // 000000004F50: D1ED00D5 010369B5
	v_perm_b32 v214, v183, v182, s63                           // 000000004F58: D1ED00D6 00FF6DB7
	v_perm_b32 v215, v183, v182, s64                           // 000000004F60: D1ED00D7 01036DB7
	ds_write_b32 v13, v200 offset:17408                        // 000000004F68: D81A4400 0000C80D
	ds_write_b32 v13, v201 offset:18464                        // 000000004F70: D81A4820 0000C90D
	ds_write_b32 v13, v202 offset:17536                        // 000000004F78: D81A4480 0000CA0D
	ds_write_b32 v13, v203 offset:18592                        // 000000004F80: D81A48A0 0000CB0D
	ds_write_b32 v13, v204 offset:21760                        // 000000004F88: D81A5500 0000CC0D
	ds_write_b32 v13, v205 offset:22816                        // 000000004F90: D81A5920 0000CD0D
	ds_write_b32 v13, v206 offset:21888                        // 000000004F98: D81A5580 0000CE0D
	ds_write_b32 v13, v207 offset:22944                        // 000000004FA0: D81A59A0 0000CF0D
	ds_write_b32 v13, v208 offset:26112                        // 000000004FA8: D81A6600 0000D00D
	ds_write_b32 v13, v209 offset:27168                        // 000000004FB0: D81A6A20 0000D10D
	ds_write_b32 v13, v210 offset:26240                        // 000000004FB8: D81A6680 0000D20D
	ds_write_b32 v13, v211 offset:27296                        // 000000004FC0: D81A6AA0 0000D30D
	ds_write_b32 v13, v212 offset:30464                        // 000000004FC8: D81A7700 0000D40D
	ds_write_b32 v13, v213 offset:31520                        // 000000004FD0: D81A7B20 0000D50D
	ds_write_b32 v13, v214 offset:30592                        // 000000004FD8: D81A7780 0000D60D
	ds_write_b32 v13, v215 offset:31648                        // 000000004FE0: D81A7BA0 0000D70D
	ds_write_b32 v11, v168                                     // 000000004FE8: D81A0000 0000A80B
	ds_write_b32 v11, v169 offset:1056                         // 000000004FF0: D81A0420 0000A90B
	ds_write_b32 v11, v170 offset:128                          // 000000004FF8: D81A0080 0000AA0B
	ds_write_b32 v11, v171 offset:1184                         // 000000005000: D81A04A0 0000AB0B
	ds_write_b32 v11, v172 offset:4352                         // 000000005008: D81A1100 0000AC0B
	ds_write_b32 v11, v173 offset:5408                         // 000000005010: D81A1520 0000AD0B
	ds_write_b32 v11, v174 offset:4480                         // 000000005018: D81A1180 0000AE0B
	ds_write_b32 v11, v175 offset:5536                         // 000000005020: D81A15A0 0000AF0B
	ds_write_b32 v11, v176 offset:8704                         // 000000005028: D81A2200 0000B00B
	ds_write_b32 v11, v177 offset:9760                         // 000000005030: D81A2620 0000B10B
	ds_write_b32 v11, v178 offset:8832                         // 000000005038: D81A2280 0000B20B
	ds_write_b32 v11, v179 offset:9888                         // 000000005040: D81A26A0 0000B30B
	ds_write_b32 v11, v180 offset:13056                        // 000000005048: D81A3300 0000B40B
	ds_write_b32 v11, v181 offset:14112                        // 000000005050: D81A3720 0000B50B
	ds_write_b32 v11, v182 offset:13184                        // 000000005058: D81A3380 0000B60B
	ds_write_b32 v11, v183 offset:14240                        // 000000005060: D81A37A0 0000B70B
	buffer_load_dword v168, v252, s[16:19], 0 idxen            // 000000005068: E0502000 8004A8FC
	buffer_load_dword v169, v253, s[16:19], 0 idxen            // 000000005070: E0502000 8004A9FD
	buffer_load_dword v170, v254, s[16:19], 0 idxen            // 000000005078: E0502000 8004AAFE
	buffer_load_dword v171, v255, s[16:19], 0 idxen            // 000000005080: E0502000 8004ABFF
	s_mul_i32 s60, 4, s7                                       // 000000005088: 923C0784
	s_cmp_lt_i32 1, s72                                        // 00000000508C: BF044881
	s_cselect_b32 s60, s60, 0                                  // 000000005090: 853C803C
	v_add_u32_e32 v252, s60, v252                              // 000000005094: 69F9F83C
	v_add_u32_e32 v253, s60, v253                              // 000000005098: 69FBFA3C
	v_add_u32_e32 v254, s60, v254                              // 00000000509C: 69FDFC3C
	v_add_u32_e32 v255, s60, v255                              // 0000000050A0: 69FFFE3C
	buffer_load_dword v172, v252, s[16:19], 0 idxen            // 0000000050A4: E0502000 8004ACFC
	buffer_load_dword v173, v253, s[16:19], 0 idxen            // 0000000050AC: E0502000 8004ADFD
	buffer_load_dword v174, v254, s[16:19], 0 idxen            // 0000000050B4: E0502000 8004AEFE
	buffer_load_dword v175, v255, s[16:19], 0 idxen            // 0000000050BC: E0502000 8004AFFF
	s_mul_i32 s60, 4, s7                                       // 0000000050C4: 923C0784
	s_cmp_lt_i32 1, s72                                        // 0000000050C8: BF044881
	s_cselect_b32 s60, s60, 0                                  // 0000000050CC: 853C803C
	v_add_u32_e32 v252, s60, v252                              // 0000000050D0: 69F9F83C
	v_add_u32_e32 v253, s60, v253                              // 0000000050D4: 69FBFA3C
	v_add_u32_e32 v254, s60, v254                              // 0000000050D8: 69FDFC3C
	v_add_u32_e32 v255, s60, v255                              // 0000000050DC: 69FFFE3C
	buffer_load_dword v176, v252, s[16:19], 0 idxen            // 0000000050E0: E0502000 8004B0FC
	buffer_load_dword v177, v253, s[16:19], 0 idxen            // 0000000050E8: E0502000 8004B1FD
	buffer_load_dword v178, v254, s[16:19], 0 idxen            // 0000000050F0: E0502000 8004B2FE
	buffer_load_dword v179, v255, s[16:19], 0 idxen            // 0000000050F8: E0502000 8004B3FF
	s_mul_i32 s60, 4, s7                                       // 000000005100: 923C0784
	s_cmp_lt_i32 1, s72                                        // 000000005104: BF044881
	s_cselect_b32 s60, s60, 0                                  // 000000005108: 853C803C
	v_add_u32_e32 v252, s60, v252                              // 00000000510C: 69F9F83C
	v_add_u32_e32 v253, s60, v253                              // 000000005110: 69FBFA3C
	v_add_u32_e32 v254, s60, v254                              // 000000005114: 69FDFC3C
	v_add_u32_e32 v255, s60, v255                              // 000000005118: 69FFFE3C
	buffer_load_dword v180, v252, s[16:19], 0 idxen            // 00000000511C: E0502000 8004B4FC
	buffer_load_dword v181, v253, s[16:19], 0 idxen            // 000000005124: E0502000 8004B5FD
	buffer_load_dword v182, v254, s[16:19], 0 idxen            // 00000000512C: E0502000 8004B6FE
	buffer_load_dword v183, v255, s[16:19], 0 idxen            // 000000005134: E0502000 8004B7FF
	s_mul_i32 s60, 4, s7                                       // 00000000513C: 923C0784
	s_cmp_lt_i32 2, s72                                        // 000000005140: BF044882
	s_cselect_b32 s60, s60, 0                                  // 000000005144: 853C803C
	v_add_u32_e32 v252, s60, v252                              // 000000005148: 69F9F83C
	v_add_u32_e32 v253, s60, v253                              // 00000000514C: 69FBFA3C
	v_add_u32_e32 v254, s60, v254                              // 000000005150: 69FDFC3C
	v_add_u32_e32 v255, s60, v255                              // 000000005154: 69FFFE3C
	s_waitcnt lgkmcnt(0)                                       // 000000005158: BF8CC07F
	s_barrier                                                  // 00000000515C: BF8A0000
	ds_read_b128 a[64:67], v23 offset:17408                    // 000000005160: DBFE4400 40000017
	ds_read_b128 a[68:71], v23 offset:17664                    // 000000005168: DBFE4500 44000017
	ds_read_b128 a[72:75], v23 offset:26112                    // 000000005170: DBFE6600 48000017
	ds_read_b128 a[76:79], v23 offset:26368                    // 000000005178: DBFE6700 4C000017
	ds_read_b128 a[16:19], v22                                 // 000000005180: DBFE0000 10000016
	ds_read_b128 a[20:23], v22 offset:512                      // 000000005188: DBFE0200 14000016
	ds_read_b128 a[24:27], v22 offset:2176                     // 000000005190: DBFE0880 18000016
	ds_read_b128 a[28:31], v22 offset:2688                     // 000000005198: DBFE0A80 1C000016
	s_waitcnt vmcnt(32) lgkmcnt(0)                             // 0000000051A0: BF8C8070
	s_barrier                                                  // 0000000051A4: BF8A0000
	s_cmp_lt_i32 2, s72                                        // 0000000051A8: BF044882
	s_cbranch_scc1 label_04FC                                  // 0000000051AC: BF850010
	v_mov_b32_e32 v184, 0                                      // 0000000051B0: 7F700280
	v_mov_b32_e32 v185, 0                                      // 0000000051B4: 7F720280
	v_mov_b32_e32 v186, 0                                      // 0000000051B8: 7F740280
	v_mov_b32_e32 v187, 0                                      // 0000000051BC: 7F760280
	v_mov_b32_e32 v188, 0                                      // 0000000051C0: 7F780280
	v_mov_b32_e32 v189, 0                                      // 0000000051C4: 7F7A0280
	v_mov_b32_e32 v190, 0                                      // 0000000051C8: 7F7C0280
	v_mov_b32_e32 v191, 0                                      // 0000000051CC: 7F7E0280
	v_mov_b32_e32 v192, 0                                      // 0000000051D0: 7F800280
	v_mov_b32_e32 v193, 0                                      // 0000000051D4: 7F820280
	v_mov_b32_e32 v194, 0                                      // 0000000051D8: 7F840280
	v_mov_b32_e32 v195, 0                                      // 0000000051DC: 7F860280
	v_mov_b32_e32 v196, 0                                      // 0000000051E0: 7F880280
	v_mov_b32_e32 v197, 0                                      // 0000000051E4: 7F8A0280
	v_mov_b32_e32 v198, 0                                      // 0000000051E8: 7F8C0280
	v_mov_b32_e32 v199, 0                                      // 0000000051EC: 7F8E0280

00000000000051f0 <label_04FC>:
	v_perm_b32 v200, v185, v184, s63                           // 0000000051F0: D1ED00C8 00FF71B9
	v_perm_b32 v201, v185, v184, s64                           // 0000000051F8: D1ED00C9 010371B9
	v_perm_b32 v202, v187, v186, s63                           // 000000005200: D1ED00CA 00FF75BB
	v_perm_b32 v203, v187, v186, s64                           // 000000005208: D1ED00CB 010375BB
	v_perm_b32 v204, v189, v188, s63                           // 000000005210: D1ED00CC 00FF79BD
	v_perm_b32 v205, v189, v188, s64                           // 000000005218: D1ED00CD 010379BD
	v_perm_b32 v206, v191, v190, s63                           // 000000005220: D1ED00CE 00FF7DBF
	v_perm_b32 v207, v191, v190, s64                           // 000000005228: D1ED00CF 01037DBF
	v_perm_b32 v208, v193, v192, s63                           // 000000005230: D1ED00D0 00FF81C1
	v_perm_b32 v209, v193, v192, s64                           // 000000005238: D1ED00D1 010381C1
	v_perm_b32 v210, v195, v194, s63                           // 000000005240: D1ED00D2 00FF85C3
	v_perm_b32 v211, v195, v194, s64                           // 000000005248: D1ED00D3 010385C3
	v_perm_b32 v212, v197, v196, s63                           // 000000005250: D1ED00D4 00FF89C5
	v_perm_b32 v213, v197, v196, s64                           // 000000005258: D1ED00D5 010389C5
	v_perm_b32 v214, v199, v198, s63                           // 000000005260: D1ED00D6 00FF8DC7
	v_perm_b32 v215, v199, v198, s64                           // 000000005268: D1ED00D7 01038DC7
	ds_write_b32 v13, v200 offset:17408                        // 000000005270: D81A4400 0000C80D
	ds_write_b32 v13, v201 offset:18464                        // 000000005278: D81A4820 0000C90D
	ds_write_b32 v13, v202 offset:17536                        // 000000005280: D81A4480 0000CA0D
	ds_write_b32 v13, v203 offset:18592                        // 000000005288: D81A48A0 0000CB0D
	ds_write_b32 v13, v204 offset:21760                        // 000000005290: D81A5500 0000CC0D
	ds_write_b32 v13, v205 offset:22816                        // 000000005298: D81A5920 0000CD0D
	ds_write_b32 v13, v206 offset:21888                        // 0000000052A0: D81A5580 0000CE0D
	ds_write_b32 v13, v207 offset:22944                        // 0000000052A8: D81A59A0 0000CF0D
	ds_write_b32 v13, v208 offset:26112                        // 0000000052B0: D81A6600 0000D00D
	ds_write_b32 v13, v209 offset:27168                        // 0000000052B8: D81A6A20 0000D10D
	ds_write_b32 v13, v210 offset:26240                        // 0000000052C0: D81A6680 0000D20D
	ds_write_b32 v13, v211 offset:27296                        // 0000000052C8: D81A6AA0 0000D30D
	ds_write_b32 v13, v212 offset:30464                        // 0000000052D0: D81A7700 0000D40D
	ds_write_b32 v13, v213 offset:31520                        // 0000000052D8: D81A7B20 0000D50D
	ds_write_b32 v13, v214 offset:30592                        // 0000000052E0: D81A7780 0000D60D
	ds_write_b32 v13, v215 offset:31648                        // 0000000052E8: D81A7BA0 0000D70D
	ds_write_b32 v11, v184                                     // 0000000052F0: D81A0000 0000B80B
	ds_write_b32 v11, v185 offset:1056                         // 0000000052F8: D81A0420 0000B90B
	ds_write_b32 v11, v186 offset:128                          // 000000005300: D81A0080 0000BA0B
	ds_write_b32 v11, v187 offset:1184                         // 000000005308: D81A04A0 0000BB0B
	ds_write_b32 v11, v188 offset:4352                         // 000000005310: D81A1100 0000BC0B
	ds_write_b32 v11, v189 offset:5408                         // 000000005318: D81A1520 0000BD0B
	ds_write_b32 v11, v190 offset:4480                         // 000000005320: D81A1180 0000BE0B
	ds_write_b32 v11, v191 offset:5536                         // 000000005328: D81A15A0 0000BF0B
	ds_write_b32 v11, v192 offset:8704                         // 000000005330: D81A2200 0000C00B
	ds_write_b32 v11, v193 offset:9760                         // 000000005338: D81A2620 0000C10B
	ds_write_b32 v11, v194 offset:8832                         // 000000005340: D81A2280 0000C20B
	ds_write_b32 v11, v195 offset:9888                         // 000000005348: D81A26A0 0000C30B
	ds_write_b32 v11, v196 offset:13056                        // 000000005350: D81A3300 0000C40B
	ds_write_b32 v11, v197 offset:14112                        // 000000005358: D81A3720 0000C50B
	ds_write_b32 v11, v198 offset:13184                        // 000000005360: D81A3380 0000C60B
	ds_write_b32 v11, v199 offset:14240                        // 000000005368: D81A37A0 0000C70B
	buffer_load_dword v184, v252, s[16:19], 0 idxen            // 000000005370: E0502000 8004B8FC
	buffer_load_dword v185, v253, s[16:19], 0 idxen            // 000000005378: E0502000 8004B9FD
	buffer_load_dword v186, v254, s[16:19], 0 idxen            // 000000005380: E0502000 8004BAFE
	buffer_load_dword v187, v255, s[16:19], 0 idxen            // 000000005388: E0502000 8004BBFF
	s_mul_i32 s60, 4, s7                                       // 000000005390: 923C0784
	s_cmp_lt_i32 2, s72                                        // 000000005394: BF044882
	s_cselect_b32 s60, s60, 0                                  // 000000005398: 853C803C
	v_add_u32_e32 v252, s60, v252                              // 00000000539C: 69F9F83C
	v_add_u32_e32 v253, s60, v253                              // 0000000053A0: 69FBFA3C
	v_add_u32_e32 v254, s60, v254                              // 0000000053A4: 69FDFC3C
	v_add_u32_e32 v255, s60, v255                              // 0000000053A8: 69FFFE3C
	buffer_load_dword v188, v252, s[16:19], 0 idxen            // 0000000053AC: E0502000 8004BCFC
	buffer_load_dword v189, v253, s[16:19], 0 idxen            // 0000000053B4: E0502000 8004BDFD
	buffer_load_dword v190, v254, s[16:19], 0 idxen            // 0000000053BC: E0502000 8004BEFE
	buffer_load_dword v191, v255, s[16:19], 0 idxen            // 0000000053C4: E0502000 8004BFFF
	s_mul_i32 s60, 4, s7                                       // 0000000053CC: 923C0784
	s_cmp_lt_i32 2, s72                                        // 0000000053D0: BF044882
	s_cselect_b32 s60, s60, 0                                  // 0000000053D4: 853C803C
	v_add_u32_e32 v252, s60, v252                              // 0000000053D8: 69F9F83C
	v_add_u32_e32 v253, s60, v253                              // 0000000053DC: 69FBFA3C
	v_add_u32_e32 v254, s60, v254                              // 0000000053E0: 69FDFC3C
	v_add_u32_e32 v255, s60, v255                              // 0000000053E4: 69FFFE3C
	buffer_load_dword v192, v252, s[16:19], 0 idxen            // 0000000053E8: E0502000 8004C0FC
	buffer_load_dword v193, v253, s[16:19], 0 idxen            // 0000000053F0: E0502000 8004C1FD
	buffer_load_dword v194, v254, s[16:19], 0 idxen            // 0000000053F8: E0502000 8004C2FE
	buffer_load_dword v195, v255, s[16:19], 0 idxen            // 000000005400: E0502000 8004C3FF
	s_mul_i32 s60, 4, s7                                       // 000000005408: 923C0784
	s_cmp_lt_i32 2, s72                                        // 00000000540C: BF044882
	s_cselect_b32 s60, s60, 0                                  // 000000005410: 853C803C
	v_add_u32_e32 v252, s60, v252                              // 000000005414: 69F9F83C
	v_add_u32_e32 v253, s60, v253                              // 000000005418: 69FBFA3C
	v_add_u32_e32 v254, s60, v254                              // 00000000541C: 69FDFC3C
	v_add_u32_e32 v255, s60, v255                              // 000000005420: 69FFFE3C
	buffer_load_dword v196, v252, s[16:19], 0 idxen            // 000000005424: E0502000 8004C4FC
	buffer_load_dword v197, v253, s[16:19], 0 idxen            // 00000000542C: E0502000 8004C5FD
	buffer_load_dword v198, v254, s[16:19], 0 idxen            // 000000005434: E0502000 8004C6FE
	buffer_load_dword v199, v255, s[16:19], 0 idxen            // 00000000543C: E0502000 8004C7FF
	s_mul_i32 s60, 4, s7                                       // 000000005444: 923C0784
	s_cmp_lt_i32 3, s72                                        // 000000005448: BF044883
	s_cselect_b32 s60, s60, 0                                  // 00000000544C: 853C803C
	v_add_u32_e32 v252, s60, v252                              // 000000005450: 69F9F83C
	v_add_u32_e32 v253, s60, v253                              // 000000005454: 69FBFA3C
	v_add_u32_e32 v254, s60, v254                              // 000000005458: 69FDFC3C
	v_add_u32_e32 v255, s60, v255                              // 00000000545C: 69FFFE3C
	s_waitcnt lgkmcnt(0)                                       // 000000005460: BF8CC07F
	s_barrier                                                  // 000000005464: BF8A0000
	ds_read_b128 a[80:83], v23 offset:17408                    // 000000005468: DBFE4400 50000017
	ds_read_b128 a[84:87], v23 offset:17664                    // 000000005470: DBFE4500 54000017
	ds_read_b128 a[88:91], v23 offset:26112                    // 000000005478: DBFE6600 58000017
	ds_read_b128 a[92:95], v23 offset:26368                    // 000000005480: DBFE6700 5C000017
	ds_read_b128 a[32:35], v22                                 // 000000005488: DBFE0000 20000016
	ds_read_b128 a[36:39], v22 offset:512                      // 000000005490: DBFE0200 24000016
	ds_read_b128 a[40:43], v22 offset:2176                     // 000000005498: DBFE0880 28000016
	ds_read_b128 a[44:47], v22 offset:2688                     // 0000000054A0: DBFE0A80 2C000016
	s_waitcnt vmcnt(32) lgkmcnt(0)                             // 0000000054A8: BF8C8070
	s_barrier                                                  // 0000000054AC: BF8A0000
	s_cmp_lt_i32 0, s72                                        // 0000000054B0: BF044880
	s_cbranch_scc1 label_05BE                                  // 0000000054B4: BF850010
	v_mov_b32_e32 v152, 0                                      // 0000000054B8: 7F300280
	v_mov_b32_e32 v153, 0                                      // 0000000054BC: 7F320280
	v_mov_b32_e32 v154, 0                                      // 0000000054C0: 7F340280
	v_mov_b32_e32 v155, 0                                      // 0000000054C4: 7F360280
	v_mov_b32_e32 v156, 0                                      // 0000000054C8: 7F380280
	v_mov_b32_e32 v157, 0                                      // 0000000054CC: 7F3A0280
	v_mov_b32_e32 v158, 0                                      // 0000000054D0: 7F3C0280
	v_mov_b32_e32 v159, 0                                      // 0000000054D4: 7F3E0280
	v_mov_b32_e32 v160, 0                                      // 0000000054D8: 7F400280
	v_mov_b32_e32 v161, 0                                      // 0000000054DC: 7F420280
	v_mov_b32_e32 v162, 0                                      // 0000000054E0: 7F440280
	v_mov_b32_e32 v163, 0                                      // 0000000054E4: 7F460280
	v_mov_b32_e32 v164, 0                                      // 0000000054E8: 7F480280
	v_mov_b32_e32 v165, 0                                      // 0000000054EC: 7F4A0280
	v_mov_b32_e32 v166, 0                                      // 0000000054F0: 7F4C0280
	v_mov_b32_e32 v167, 0                                      // 0000000054F4: 7F4E0280

00000000000054f8 <label_05BE>:
	ds_write_b32 v11, v152                                     // 0000000054F8: D81A0000 0000980B
	ds_write_b32 v11, v153 offset:1056                         // 000000005500: D81A0420 0000990B
	ds_write_b32 v11, v154 offset:128                          // 000000005508: D81A0080 00009A0B
	ds_write_b32 v11, v155 offset:1184                         // 000000005510: D81A04A0 00009B0B
	ds_write_b32 v11, v156 offset:4352                         // 000000005518: D81A1100 00009C0B
	ds_write_b32 v11, v157 offset:5408                         // 000000005520: D81A1520 00009D0B
	ds_write_b32 v11, v158 offset:4480                         // 000000005528: D81A1180 00009E0B
	ds_write_b32 v11, v159 offset:5536                         // 000000005530: D81A15A0 00009F0B
	ds_write_b32 v11, v160 offset:8704                         // 000000005538: D81A2200 0000A00B
	ds_write_b32 v11, v161 offset:9760                         // 000000005540: D81A2620 0000A10B
	ds_write_b32 v11, v162 offset:8832                         // 000000005548: D81A2280 0000A20B
	ds_write_b32 v11, v163 offset:9888                         // 000000005550: D81A26A0 0000A30B
	ds_write_b32 v11, v164 offset:13056                        // 000000005558: D81A3300 0000A40B
	ds_write_b32 v11, v165 offset:14112                        // 000000005560: D81A3720 0000A50B
	ds_write_b32 v11, v166 offset:13184                        // 000000005568: D81A3380 0000A60B
	ds_write_b32 v11, v167 offset:14240                        // 000000005570: D81A37A0 0000A70B
	s_mov_b32 s71, s5                                          // 000000005578: BEC70005
	v_lshrrev_b32_e32 v28, 4, v0                               // 00000000557C: 20380084
	v_and_b32_e32 v29, 1, v28                                  // 000000005580: 263A3881
	v_lshlrev_b32_e32 v29, 1, v29                              // 000000005584: 243A3A81
	v_mul_i32_i24_e32 v29, s71, v29                            // 000000005588: 0C3A3A47
	v_and_b32_e32 v30, 2, v28                                  // 00000000558C: 263C3882
	v_lshlrev_b32_e32 v30, 5, v30                              // 000000005590: 243C3C85
	v_add_u32_e32 v29, v30, v29                                // 000000005594: 683A3B1E
	v_and_b32_e32 v28, 15, v0                                  // 000000005598: 2638008F
	v_lshlrev_b32_e32 v28, 2, v28                              // 00000000559C: 24383882
	v_add_u32_e32 v1, v28, v29                                 // 0000000055A0: 68023B1C
	s_and_b32 s60, 1, s46                                      // 0000000055A4: 863C2E81
	s_mul_i32 s60, s60, s71                                    // 0000000055A8: 923C473C
	s_mul_i32 s60, s60, 8                                      // 0000000055AC: 923C883C
	s_lshr_b32 s61, s46, 1                                     // 0000000055B0: 8F3D812E
	s_mul_i32 s61, s61, 0x80                                   // 0000000055B4: 923DFF3D 00000080
	s_add_u32 s60, s60, s61                                    // 0000000055BC: 803C3D3C
	v_add_u32_e32 v1, s60, v1                                  // 0000000055C0: 6802023C
	v_add_u32_e32 v2, s71, v1                                  // 0000000055C4: 68040247
	s_mul_i32 s60, 4, s71                                      // 0000000055C8: 923C4784
	v_add_u32_e32 v3, s60, v1                                  // 0000000055CC: 6806023C
	v_add_u32_e32 v4, s60, v2                                  // 0000000055D0: 6808043C
	s_mov_b32 s71, s51                                         // 0000000055D4: BEC70033
	v_lshrrev_b32_e32 v28, 4, v0                               // 0000000055D8: 20380084
	v_and_b32_e32 v29, 1, v28                                  // 0000000055DC: 263A3881
	v_lshlrev_b32_e32 v29, 1, v29                              // 0000000055E0: 243A3A81
	v_mul_i32_i24_e32 v29, s71, v29                            // 0000000055E4: 0C3A3A47
	v_and_b32_e32 v30, 2, v28                                  // 0000000055E8: 263C3882
	v_lshlrev_b32_e32 v30, 5, v30                              // 0000000055EC: 243C3C85
	v_add_u32_e32 v29, v30, v29                                // 0000000055F0: 683A3B1E
	v_and_b32_e32 v28, 15, v0                                  // 0000000055F4: 2638008F
	v_lshlrev_b32_e32 v28, 2, v28                              // 0000000055F8: 24383882
	v_add_u32_e32 v252, v28, v29                               // 0000000055FC: 69F83B1C
	s_and_b32 s60, 1, s46                                      // 000000005600: 863C2E81
	s_mul_i32 s60, s60, s71                                    // 000000005604: 923C473C
	s_mul_i32 s60, s60, 8                                      // 000000005608: 923C883C
	s_lshr_b32 s61, s46, 1                                     // 00000000560C: 8F3D812E
	s_mul_i32 s61, s61, 0x80                                   // 000000005610: 923DFF3D 00000080
	s_add_u32 s60, s60, s61                                    // 000000005618: 803C3D3C
	v_add_u32_e32 v252, s60, v252                              // 00000000561C: 69F9F83C
	v_add_u32_e32 v253, s71, v252                              // 000000005620: 69FBF847
	s_mul_i32 s60, 4, s71                                      // 000000005624: 923C4784
	v_add_u32_e32 v254, s60, v252                              // 000000005628: 69FDF83C
	v_add_u32_e32 v255, s60, v253                              // 00000000562C: 69FFFA3C
	v_lshrrev_b32_e32 v1, 2, v1                                // 000000005630: 20020282
	v_lshrrev_b32_e32 v2, 2, v2                                // 000000005634: 20040482
	;; [unrolled: 1-line block ×3, first 2 shown]
	v_lshrrev_b32_e32 v4, 2, v4                                // 00000000563C: 20080882
	v_lshrrev_b32_e32 v252, 2, v252                            // 000000005640: 21F9F882
	v_lshrrev_b32_e32 v253, 2, v253                            // 000000005644: 21FBFA82
	v_lshrrev_b32_e32 v254, 2, v254                            // 000000005648: 21FDFC82
	v_lshrrev_b32_e32 v255, 2, v255                            // 00000000564C: 21FFFE82
	buffer_load_dword v32, v1, s[8:11], 0 idxen                // 000000005650: E0502000 80022001
	buffer_load_dword v33, v2, s[8:11], 0 idxen                // 000000005658: E0502000 80022102
	;; [unrolled: 1-line block ×4, first 2 shown]
	buffer_load_dword v40, v252, s[20:23], 0 idxen             // 000000005670: E0502000 800528FC
	buffer_load_dword v41, v253, s[20:23], 0 idxen             // 000000005678: E0502000 800529FD
	buffer_load_dword v42, v254, s[20:23], 0 idxen             // 000000005680: E0502000 80052AFE
	buffer_load_dword v43, v255, s[20:23], 0 idxen             // 000000005688: E0502000 80052BFF
	s_waitcnt lgkmcnt(0)                                       // 000000005690: BF8CC07F
	s_barrier                                                  // 000000005694: BF8A0000
	ds_read_b128 a[96:99], v22                                 // 000000005698: DBFE0000 60000016
	ds_read_b128 a[100:103], v22 offset:512                    // 0000000056A0: DBFE0200 64000016
	ds_read_b128 a[104:107], v22 offset:2176                   // 0000000056A8: DBFE0880 68000016
	ds_read_b128 a[108:111], v22 offset:2688                   // 0000000056B0: DBFE0A80 6C000016
	v_add_u32_e32 v1, s68, v1                                  // 0000000056B8: 68020244
	v_add_u32_e32 v2, s68, v2                                  // 0000000056BC: 68040444
	v_add_u32_e32 v3, s68, v3                                  // 0000000056C0: 68060644
	v_add_u32_e32 v4, s68, v4                                  // 0000000056C4: 68080844
	v_add_u32_e32 v252, s100, v252                             // 0000000056C8: 69F9F864
	v_add_u32_e32 v253, s100, v253                             // 0000000056CC: 69FBFA64
	v_add_u32_e32 v254, s100, v254                             // 0000000056D0: 69FDFC64
	v_add_u32_e32 v255, s100, v255                             // 0000000056D4: 69FFFE64
	s_waitcnt vmcnt(24) lgkmcnt(0)                             // 0000000056D8: BF8C4078
	s_barrier                                                  // 0000000056DC: BF8A0000
	s_cmp_lt_i32 1, s72                                        // 0000000056E0: BF044881
	s_cbranch_scc1 label_064A                                  // 0000000056E4: BF850010
	v_mov_b32_e32 v168, 0                                      // 0000000056E8: 7F500280
	v_mov_b32_e32 v169, 0                                      // 0000000056EC: 7F520280
	v_mov_b32_e32 v170, 0                                      // 0000000056F0: 7F540280
	v_mov_b32_e32 v171, 0                                      // 0000000056F4: 7F560280
	v_mov_b32_e32 v172, 0                                      // 0000000056F8: 7F580280
	v_mov_b32_e32 v173, 0                                      // 0000000056FC: 7F5A0280
	v_mov_b32_e32 v174, 0                                      // 000000005700: 7F5C0280
	v_mov_b32_e32 v175, 0                                      // 000000005704: 7F5E0280
	v_mov_b32_e32 v176, 0                                      // 000000005708: 7F600280
	v_mov_b32_e32 v177, 0                                      // 00000000570C: 7F620280
	v_mov_b32_e32 v178, 0                                      // 000000005710: 7F640280
	v_mov_b32_e32 v179, 0                                      // 000000005714: 7F660280
	v_mov_b32_e32 v180, 0                                      // 000000005718: 7F680280
	v_mov_b32_e32 v181, 0                                      // 00000000571C: 7F6A0280
	v_mov_b32_e32 v182, 0                                      // 000000005720: 7F6C0280
	v_mov_b32_e32 v183, 0                                      // 000000005724: 7F6E0280

0000000000005728 <label_064A>:
	ds_write_b32 v11, v168                                     // 000000005728: D81A0000 0000A80B
	ds_write_b32 v11, v169 offset:1056                         // 000000005730: D81A0420 0000A90B
	ds_write_b32 v11, v170 offset:128                          // 000000005738: D81A0080 0000AA0B
	ds_write_b32 v11, v171 offset:1184                         // 000000005740: D81A04A0 0000AB0B
	ds_write_b32 v11, v172 offset:4352                         // 000000005748: D81A1100 0000AC0B
	ds_write_b32 v11, v173 offset:5408                         // 000000005750: D81A1520 0000AD0B
	ds_write_b32 v11, v174 offset:4480                         // 000000005758: D81A1180 0000AE0B
	ds_write_b32 v11, v175 offset:5536                         // 000000005760: D81A15A0 0000AF0B
	ds_write_b32 v11, v176 offset:8704                         // 000000005768: D81A2200 0000B00B
	ds_write_b32 v11, v177 offset:9760                         // 000000005770: D81A2620 0000B10B
	ds_write_b32 v11, v178 offset:8832                         // 000000005778: D81A2280 0000B20B
	ds_write_b32 v11, v179 offset:9888                         // 000000005780: D81A26A0 0000B30B
	ds_write_b32 v11, v180 offset:13056                        // 000000005788: D81A3300 0000B40B
	ds_write_b32 v11, v181 offset:14112                        // 000000005790: D81A3720 0000B50B
	ds_write_b32 v11, v182 offset:13184                        // 000000005798: D81A3380 0000B60B
	ds_write_b32 v11, v183 offset:14240                        // 0000000057A0: D81A37A0 0000B70B
	buffer_load_dword v36, v1, s[8:11], 0 idxen                // 0000000057A8: E0502000 80022401
	buffer_load_dword v37, v2, s[8:11], 0 idxen                // 0000000057B0: E0502000 80022502
	buffer_load_dword v38, v3, s[8:11], 0 idxen                // 0000000057B8: E0502000 80022603
	buffer_load_dword v39, v4, s[8:11], 0 idxen                // 0000000057C0: E0502000 80022704
	buffer_load_dword v44, v252, s[20:23], 0 idxen             // 0000000057C8: E0502000 80052CFC
	buffer_load_dword v45, v253, s[20:23], 0 idxen             // 0000000057D0: E0502000 80052DFD
	buffer_load_dword v46, v254, s[20:23], 0 idxen             // 0000000057D8: E0502000 80052EFE
	buffer_load_dword v47, v255, s[20:23], 0 idxen             // 0000000057E0: E0502000 80052FFF
	s_waitcnt lgkmcnt(0)                                       // 0000000057E8: BF8CC07F
	s_barrier                                                  // 0000000057EC: BF8A0000
	ds_read_b128 a[112:115], v22                               // 0000000057F0: DBFE0000 70000016
	ds_read_b128 a[116:119], v22 offset:512                    // 0000000057F8: DBFE0200 74000016
	ds_read_b128 a[120:123], v22 offset:2176                   // 000000005800: DBFE0880 78000016
	ds_read_b128 a[124:127], v22 offset:2688                   // 000000005808: DBFE0A80 7C000016
	v_add_u32_e32 v1, s68, v1                                  // 000000005810: 68020244
	v_add_u32_e32 v2, s68, v2                                  // 000000005814: 68040444
	;; [unrolled: 1-line block ×3, first 2 shown]
	v_add_u32_e32 v4, s68, v4                                  // 00000000581C: 68080844
	v_add_u32_e32 v252, s100, v252                             // 000000005820: 69F9F864
	v_add_u32_e32 v253, s100, v253                             // 000000005824: 69FBFA64
	v_add_u32_e32 v254, s100, v254                             // 000000005828: 69FDFC64
	v_add_u32_e32 v255, s100, v255                             // 00000000582C: 69FFFE64
	s_waitcnt vmcnt(16) lgkmcnt(0)                             // 000000005830: BF8C4070
	s_barrier                                                  // 000000005834: BF8A0000
	s_cmp_lt_i32 2, s72                                        // 000000005838: BF044882
	s_cbranch_scc1 label_06A0                                  // 00000000583C: BF850010
	v_mov_b32_e32 v184, 0                                      // 000000005840: 7F700280
	v_mov_b32_e32 v185, 0                                      // 000000005844: 7F720280
	v_mov_b32_e32 v186, 0                                      // 000000005848: 7F740280
	v_mov_b32_e32 v187, 0                                      // 00000000584C: 7F760280
	v_mov_b32_e32 v188, 0                                      // 000000005850: 7F780280
	v_mov_b32_e32 v189, 0                                      // 000000005854: 7F7A0280
	v_mov_b32_e32 v190, 0                                      // 000000005858: 7F7C0280
	v_mov_b32_e32 v191, 0                                      // 00000000585C: 7F7E0280
	v_mov_b32_e32 v192, 0                                      // 000000005860: 7F800280
	v_mov_b32_e32 v193, 0                                      // 000000005864: 7F820280
	v_mov_b32_e32 v194, 0                                      // 000000005868: 7F840280
	v_mov_b32_e32 v195, 0                                      // 00000000586C: 7F860280
	v_mov_b32_e32 v196, 0                                      // 000000005870: 7F880280
	v_mov_b32_e32 v197, 0                                      // 000000005874: 7F8A0280
	v_mov_b32_e32 v198, 0                                      // 000000005878: 7F8C0280
	v_mov_b32_e32 v199, 0                                      // 00000000587C: 7F8E0280

0000000000005880 <label_06A0>:
	ds_write_b32 v11, v184                                     // 000000005880: D81A0000 0000B80B
	ds_write_b32 v11, v185 offset:1056                         // 000000005888: D81A0420 0000B90B
	ds_write_b32 v11, v186 offset:128                          // 000000005890: D81A0080 0000BA0B
	ds_write_b32 v11, v187 offset:1184                         // 000000005898: D81A04A0 0000BB0B
	ds_write_b32 v11, v188 offset:4352                         // 0000000058A0: D81A1100 0000BC0B
	ds_write_b32 v11, v189 offset:5408                         // 0000000058A8: D81A1520 0000BD0B
	ds_write_b32 v11, v190 offset:4480                         // 0000000058B0: D81A1180 0000BE0B
	ds_write_b32 v11, v191 offset:5536                         // 0000000058B8: D81A15A0 0000BF0B
	ds_write_b32 v11, v192 offset:8704                         // 0000000058C0: D81A2200 0000C00B
	ds_write_b32 v11, v193 offset:9760                         // 0000000058C8: D81A2620 0000C10B
	ds_write_b32 v11, v194 offset:8832                         // 0000000058D0: D81A2280 0000C20B
	ds_write_b32 v11, v195 offset:9888                         // 0000000058D8: D81A26A0 0000C30B
	ds_write_b32 v11, v196 offset:13056                        // 0000000058E0: D81A3300 0000C40B
	ds_write_b32 v11, v197 offset:14112                        // 0000000058E8: D81A3720 0000C50B
	ds_write_b32 v11, v198 offset:13184                        // 0000000058F0: D81A3380 0000C60B
	ds_write_b32 v11, v199 offset:14240                        // 0000000058F8: D81A37A0 0000C70B
	s_waitcnt lgkmcnt(0)                                       // 000000005900: BF8CC07F
	s_barrier                                                  // 000000005904: BF8A0000
	ds_read_b128 a[128:131], v22                               // 000000005908: DBFE0000 80000016
	ds_read_b128 a[132:135], v22 offset:512                    // 000000005910: DBFE0200 84000016
	ds_read_b128 a[136:139], v22 offset:2176                   // 000000005918: DBFE0880 88000016
	ds_read_b128 a[140:143], v22 offset:2688                   // 000000005920: DBFE0A80 8C000016
	s_waitcnt vmcnt(8) lgkmcnt(0)                              // 000000005928: BF8C0078
	s_barrier                                                  // 00000000592C: BF8A0000
	buffer_load_dword v9, s[24:27], 0 idxen lds                // 000000005930: E0512000 80060009
	s_mov_b32 m0, s81                                          // 000000005938: BEFC0051
	v_add_u32_e32 v9, s69, v9                                  // 00000000593C: 68121245
	v_perm_b32 v84, v33, v32, s63                              // 000000005940: D1ED0054 00FE4121
	v_perm_b32 v85, v33, v32, s64                              // 000000005948: D1ED0055 01024121
	v_perm_b32 v86, v35, v34, s63                              // 000000005950: D1ED0056 00FE4523
	v_perm_b32 v87, v35, v34, s64                              // 000000005958: D1ED0057 01024523
	ds_write_b32 v13, v84 offset:4352                          // 000000005960: D81A1100 0000540D
	ds_write_b32 v13, v85 offset:5408                          // 000000005968: D81A1520 0000550D
	ds_write_b32 v13, v86 offset:4480                          // 000000005970: D81A1180 0000560D
	ds_write_b32 v13, v87 offset:5536                          // 000000005978: D81A15A0 0000570D
	ds_write_b32 v11, v32                                      // 000000005980: D81A0000 0000200B
	ds_write_b32 v11, v33 offset:1056                          // 000000005988: D81A0420 0000210B
	ds_write_b32 v11, v34 offset:128                           // 000000005990: D81A0080 0000220B
	ds_write_b32 v11, v35 offset:1184                          // 000000005998: D81A04A0 0000230B
	buffer_load_dword v9, s[24:27], 0 idxen lds                // 0000000059A0: E0512000 80060009
	s_mov_b32 m0, s80                                          // 0000000059A8: BEFC0050
	v_add_u32_e32 v9, s69, v9                                  // 0000000059AC: 68121245
	v_perm_b32 v88, v41, v40, s63                              // 0000000059B0: D1ED0058 00FE5129
	v_perm_b32 v89, v41, v40, s64                              // 0000000059B8: D1ED0059 01025129
	v_perm_b32 v90, v43, v42, s63                              // 0000000059C0: D1ED005A 00FE552B
	v_perm_b32 v91, v43, v42, s64                              // 0000000059C8: D1ED005B 0102552B
	ds_write_b32 v13, v88 offset:13056                         // 0000000059D0: D81A3300 0000580D
	ds_write_b32 v13, v89 offset:14112                         // 0000000059D8: D81A3720 0000590D
	ds_write_b32 v13, v90 offset:13184                         // 0000000059E0: D81A3380 00005A0D
	ds_write_b32 v13, v91 offset:14240                         // 0000000059E8: D81A37A0 00005B0D
	ds_write_b32 v11, v40 offset:8704                          // 0000000059F0: D81A2200 0000280B
	ds_write_b32 v11, v41 offset:9760                          // 0000000059F8: D81A2620 0000290B
	ds_write_b32 v11, v42 offset:8832                          // 000000005A00: D81A2280 00002A0B
	ds_write_b32 v11, v43 offset:9888                          // 000000005A08: D81A26A0 00002B0B
	s_waitcnt vmcnt(1) lgkmcnt(0)                              // 000000005A10: BF8C0071
	s_barrier                                                  // 000000005A14: BF8A0000
	ds_read_b128 a[144:147], v10                               // 000000005A18: DBFE0000 9000000A
	ds_read_b128 a[148:151], v10 offset:512                    // 000000005A20: DBFE0200 9400000A
	ds_read_b128 a[152:155], v10 offset:2176                   // 000000005A28: DBFE0880 9800000A
	ds_read_b128 a[156:159], v10 offset:2688                   // 000000005A30: DBFE0A80 9C00000A
	ds_read_b128 v[92:95], v10 offset:8704                     // 000000005A38: D9FE2200 5C00000A
	ds_read_b128 v[96:99], v10 offset:9216                     // 000000005A40: D9FE2400 6000000A
	ds_read_b128 v[100:103], v10 offset:10880                  // 000000005A48: D9FE2A80 6400000A
	ds_read_b128 v[104:107], v10 offset:11392                  // 000000005A50: D9FE2C80 6800000A
	ds_read_b32 v124, v21 offset:50688                         // 000000005A58: D86CC600 7C000015
	ds_read_b32 v150, v21 offset:50944                         // 000000005A60: D86CC700 96000015
	v_accvgpr_write_b32 a160, 0                                // 000000005A68: D3D940A0 18000080
	v_mov_b32_e32 v152, 0                                      // 000000005A70: 7F300280
	v_accvgpr_write_b32 a161, 0                                // 000000005A74: D3D940A1 18000080
	v_mov_b32_e32 v153, 0                                      // 000000005A7C: 7F320280
	v_accvgpr_write_b32 a162, 0                                // 000000005A80: D3D940A2 18000080
	v_mov_b32_e32 v154, 0                                      // 000000005A88: 7F340280
	v_accvgpr_write_b32 a163, 0                                // 000000005A8C: D3D940A3 18000080
	v_mov_b32_e32 v155, 0                                      // 000000005A94: 7F360280
	v_accvgpr_write_b32 a164, 0                                // 000000005A98: D3D940A4 18000080
	v_mov_b32_e32 v156, 0                                      // 000000005AA0: 7F380280
	v_accvgpr_write_b32 a165, 0                                // 000000005AA4: D3D940A5 18000080
	v_mov_b32_e32 v157, 0                                      // 000000005AAC: 7F3A0280
	v_accvgpr_write_b32 a166, 0                                // 000000005AB0: D3D940A6 18000080
	v_mov_b32_e32 v158, 0                                      // 000000005AB8: 7F3C0280
	v_accvgpr_write_b32 a167, 0                                // 000000005ABC: D3D940A7 18000080
	v_mov_b32_e32 v159, 0                                      // 000000005AC4: 7F3E0280
	v_accvgpr_write_b32 a168, 0                                // 000000005AC8: D3D940A8 18000080
	v_mov_b32_e32 v160, 0                                      // 000000005AD0: 7F400280
	v_accvgpr_write_b32 a169, 0                                // 000000005AD4: D3D940A9 18000080
	v_mov_b32_e32 v161, 0                                      // 000000005ADC: 7F420280
	v_accvgpr_write_b32 a170, 0                                // 000000005AE0: D3D940AA 18000080
	v_mov_b32_e32 v162, 0                                      // 000000005AE8: 7F440280
	v_accvgpr_write_b32 a171, 0                                // 000000005AEC: D3D940AB 18000080
	v_mov_b32_e32 v163, 0                                      // 000000005AF4: 7F460280
	v_accvgpr_write_b32 a172, 0                                // 000000005AF8: D3D940AC 18000080
	v_mov_b32_e32 v164, 0                                      // 000000005B00: 7F480280
	v_accvgpr_write_b32 a173, 0                                // 000000005B04: D3D940AD 18000080
	v_mov_b32_e32 v165, 0                                      // 000000005B0C: 7F4A0280
	v_accvgpr_write_b32 a174, 0                                // 000000005B10: D3D940AE 18000080
	v_mov_b32_e32 v166, 0                                      // 000000005B18: 7F4C0280
	v_accvgpr_write_b32 a175, 0                                // 000000005B1C: D3D940AF 18000080
	v_mov_b32_e32 v167, 0                                      // 000000005B24: 7F4E0280
	v_accvgpr_write_b32 a176, 0                                // 000000005B28: D3D940B0 18000080
	v_mov_b32_e32 v168, 0                                      // 000000005B30: 7F500280
	v_accvgpr_write_b32 a177, 0                                // 000000005B34: D3D940B1 18000080
	v_mov_b32_e32 v169, 0                                      // 000000005B3C: 7F520280
	v_accvgpr_write_b32 a178, 0                                // 000000005B40: D3D940B2 18000080
	v_mov_b32_e32 v170, 0                                      // 000000005B48: 7F540280
	v_accvgpr_write_b32 a179, 0                                // 000000005B4C: D3D940B3 18000080
	v_mov_b32_e32 v171, 0                                      // 000000005B54: 7F560280
	v_accvgpr_write_b32 a180, 0                                // 000000005B58: D3D940B4 18000080
	v_mov_b32_e32 v172, 0                                      // 000000005B60: 7F580280
	v_accvgpr_write_b32 a181, 0                                // 000000005B64: D3D940B5 18000080
	v_mov_b32_e32 v173, 0                                      // 000000005B6C: 7F5A0280
	v_accvgpr_write_b32 a182, 0                                // 000000005B70: D3D940B6 18000080
	v_mov_b32_e32 v174, 0                                      // 000000005B78: 7F5C0280
	v_accvgpr_write_b32 a183, 0                                // 000000005B7C: D3D940B7 18000080
	v_mov_b32_e32 v175, 0                                      // 000000005B84: 7F5E0280
	v_accvgpr_write_b32 a184, 0                                // 000000005B88: D3D940B8 18000080
	v_mov_b32_e32 v176, 0                                      // 000000005B90: 7F600280
	v_accvgpr_write_b32 a185, 0                                // 000000005B94: D3D940B9 18000080
	v_mov_b32_e32 v177, 0                                      // 000000005B9C: 7F620280
	v_accvgpr_write_b32 a186, 0                                // 000000005BA0: D3D940BA 18000080
	v_mov_b32_e32 v178, 0                                      // 000000005BA8: 7F640280
	v_accvgpr_write_b32 a187, 0                                // 000000005BAC: D3D940BB 18000080
	v_mov_b32_e32 v179, 0                                      // 000000005BB4: 7F660280
	v_accvgpr_write_b32 a188, 0                                // 000000005BB8: D3D940BC 18000080
	v_mov_b32_e32 v180, 0                                      // 000000005BC0: 7F680280
	v_accvgpr_write_b32 a189, 0                                // 000000005BC4: D3D940BD 18000080
	v_mov_b32_e32 v181, 0                                      // 000000005BCC: 7F6A0280
	v_accvgpr_write_b32 a190, 0                                // 000000005BD0: D3D940BE 18000080
	v_mov_b32_e32 v182, 0                                      // 000000005BD8: 7F6C0280
	v_accvgpr_write_b32 a191, 0                                // 000000005BDC: D3D940BF 18000080
	v_mov_b32_e32 v183, 0                                      // 000000005BE4: 7F6E0280
	v_accvgpr_write_b32 a192, 0                                // 000000005BE8: D3D940C0 18000080
	v_mov_b32_e32 v184, 0                                      // 000000005BF0: 7F700280
	v_accvgpr_write_b32 a193, 0                                // 000000005BF4: D3D940C1 18000080
	v_mov_b32_e32 v185, 0                                      // 000000005BFC: 7F720280
	v_accvgpr_write_b32 a194, 0                                // 000000005C00: D3D940C2 18000080
	v_mov_b32_e32 v186, 0                                      // 000000005C08: 7F740280
	v_accvgpr_write_b32 a195, 0                                // 000000005C0C: D3D940C3 18000080
	v_mov_b32_e32 v187, 0                                      // 000000005C14: 7F760280
	v_accvgpr_write_b32 a196, 0                                // 000000005C18: D3D940C4 18000080
	v_mov_b32_e32 v188, 0                                      // 000000005C20: 7F780280
	v_accvgpr_write_b32 a197, 0                                // 000000005C24: D3D940C5 18000080
	v_mov_b32_e32 v189, 0                                      // 000000005C2C: 7F7A0280
	v_accvgpr_write_b32 a198, 0                                // 000000005C30: D3D940C6 18000080
	v_mov_b32_e32 v190, 0                                      // 000000005C38: 7F7C0280
	v_accvgpr_write_b32 a199, 0                                // 000000005C3C: D3D940C7 18000080
	v_mov_b32_e32 v191, 0                                      // 000000005C44: 7F7E0280
	v_accvgpr_write_b32 a200, 0                                // 000000005C48: D3D940C8 18000080
	v_mov_b32_e32 v192, 0                                      // 000000005C50: 7F800280
	v_accvgpr_write_b32 a201, 0                                // 000000005C54: D3D940C9 18000080
	v_mov_b32_e32 v193, 0                                      // 000000005C5C: 7F820280
	v_accvgpr_write_b32 a202, 0                                // 000000005C60: D3D940CA 18000080
	v_mov_b32_e32 v194, 0                                      // 000000005C68: 7F840280
	v_accvgpr_write_b32 a203, 0                                // 000000005C6C: D3D940CB 18000080
	v_mov_b32_e32 v195, 0                                      // 000000005C74: 7F860280
	v_accvgpr_write_b32 a204, 0                                // 000000005C78: D3D940CC 18000080
	v_mov_b32_e32 v196, 0                                      // 000000005C80: 7F880280
	v_accvgpr_write_b32 a205, 0                                // 000000005C84: D3D940CD 18000080
	v_mov_b32_e32 v197, 0                                      // 000000005C8C: 7F8A0280
	v_accvgpr_write_b32 a206, 0                                // 000000005C90: D3D940CE 18000080
	v_mov_b32_e32 v198, 0                                      // 000000005C98: 7F8C0280
	v_accvgpr_write_b32 a207, 0                                // 000000005C9C: D3D940CF 18000080
	v_mov_b32_e32 v199, 0                                      // 000000005CA4: 7F8E0280
	v_accvgpr_write_b32 a208, 0                                // 000000005CA8: D3D940D0 18000080
	v_mov_b32_e32 v200, 0                                      // 000000005CB0: 7F900280
	v_accvgpr_write_b32 a209, 0                                // 000000005CB4: D3D940D1 18000080
	v_mov_b32_e32 v201, 0                                      // 000000005CBC: 7F920280
	v_accvgpr_write_b32 a210, 0                                // 000000005CC0: D3D940D2 18000080
	v_mov_b32_e32 v202, 0                                      // 000000005CC8: 7F940280
	v_accvgpr_write_b32 a211, 0                                // 000000005CCC: D3D940D3 18000080
	v_mov_b32_e32 v203, 0                                      // 000000005CD4: 7F960280
	v_accvgpr_write_b32 a212, 0                                // 000000005CD8: D3D940D4 18000080
	v_mov_b32_e32 v204, 0                                      // 000000005CE0: 7F980280
	v_accvgpr_write_b32 a213, 0                                // 000000005CE4: D3D940D5 18000080
	v_mov_b32_e32 v205, 0                                      // 000000005CEC: 7F9A0280
	v_accvgpr_write_b32 a214, 0                                // 000000005CF0: D3D940D6 18000080
	v_mov_b32_e32 v206, 0                                      // 000000005CF8: 7F9C0280
	v_accvgpr_write_b32 a215, 0                                // 000000005CFC: D3D940D7 18000080
	v_mov_b32_e32 v207, 0                                      // 000000005D04: 7F9E0280
	v_accvgpr_write_b32 a216, 0                                // 000000005D08: D3D940D8 18000080
	v_mov_b32_e32 v208, 0                                      // 000000005D10: 7FA00280
	v_accvgpr_write_b32 a217, 0                                // 000000005D14: D3D940D9 18000080
	v_mov_b32_e32 v209, 0                                      // 000000005D1C: 7FA20280
	v_accvgpr_write_b32 a218, 0                                // 000000005D20: D3D940DA 18000080
	v_mov_b32_e32 v210, 0                                      // 000000005D28: 7FA40280
	v_accvgpr_write_b32 a219, 0                                // 000000005D2C: D3D940DB 18000080
	v_mov_b32_e32 v211, 0                                      // 000000005D34: 7FA60280
	v_accvgpr_write_b32 a220, 0                                // 000000005D38: D3D940DC 18000080
	v_mov_b32_e32 v212, 0                                      // 000000005D40: 7FA80280
	v_accvgpr_write_b32 a221, 0                                // 000000005D44: D3D940DD 18000080
	v_mov_b32_e32 v213, 0                                      // 000000005D4C: 7FAA0280
	v_accvgpr_write_b32 a222, 0                                // 000000005D50: D3D940DE 18000080
	v_mov_b32_e32 v214, 0                                      // 000000005D58: 7FAC0280
	v_accvgpr_write_b32 a223, 0                                // 000000005D5C: D3D940DF 18000080
	v_mov_b32_e32 v215, 0                                      // 000000005D64: 7FAE0280
	v_accvgpr_write_b32 a224, 0                                // 000000005D68: D3D940E0 18000080
	v_mov_b32_e32 v216, 0                                      // 000000005D70: 7FB00280
	v_accvgpr_write_b32 a225, 0                                // 000000005D74: D3D940E1 18000080
	v_mov_b32_e32 v217, 0                                      // 000000005D7C: 7FB20280
	v_accvgpr_write_b32 a226, 0                                // 000000005D80: D3D940E2 18000080
	v_mov_b32_e32 v218, 0                                      // 000000005D88: 7FB40280
	v_accvgpr_write_b32 a227, 0                                // 000000005D8C: D3D940E3 18000080
	v_mov_b32_e32 v219, 0                                      // 000000005D94: 7FB60280
	v_accvgpr_write_b32 a228, 0                                // 000000005D98: D3D940E4 18000080
	v_mov_b32_e32 v220, 0                                      // 000000005DA0: 7FB80280
	v_accvgpr_write_b32 a229, 0                                // 000000005DA4: D3D940E5 18000080
	v_mov_b32_e32 v221, 0                                      // 000000005DAC: 7FBA0280
	v_accvgpr_write_b32 a230, 0                                // 000000005DB0: D3D940E6 18000080
	v_mov_b32_e32 v222, 0                                      // 000000005DB8: 7FBC0280
	v_accvgpr_write_b32 a231, 0                                // 000000005DBC: D3D940E7 18000080
	v_mov_b32_e32 v223, 0                                      // 000000005DC4: 7FBE0280
	v_accvgpr_write_b32 a232, 0                                // 000000005DC8: D3D940E8 18000080
	v_mov_b32_e32 v224, 0                                      // 000000005DD0: 7FC00280
	v_accvgpr_write_b32 a233, 0                                // 000000005DD4: D3D940E9 18000080
	v_mov_b32_e32 v225, 0                                      // 000000005DDC: 7FC20280
	v_accvgpr_write_b32 a234, 0                                // 000000005DE0: D3D940EA 18000080
	v_mov_b32_e32 v226, 0                                      // 000000005DE8: 7FC40280
	v_accvgpr_write_b32 a235, 0                                // 000000005DEC: D3D940EB 18000080
	v_mov_b32_e32 v227, 0                                      // 000000005DF4: 7FC60280
	v_accvgpr_write_b32 a236, 0                                // 000000005DF8: D3D940EC 18000080
	v_mov_b32_e32 v228, 0                                      // 000000005E00: 7FC80280
	v_accvgpr_write_b32 a237, 0                                // 000000005E04: D3D940ED 18000080
	v_mov_b32_e32 v229, 0                                      // 000000005E0C: 7FCA0280
	v_accvgpr_write_b32 a238, 0                                // 000000005E10: D3D940EE 18000080
	v_mov_b32_e32 v230, 0                                      // 000000005E18: 7FCC0280
	v_accvgpr_write_b32 a239, 0                                // 000000005E1C: D3D940EF 18000080
	v_mov_b32_e32 v231, 0                                      // 000000005E24: 7FCE0280
	v_accvgpr_write_b32 a240, 0                                // 000000005E28: D3D940F0 18000080
	v_mov_b32_e32 v232, 0                                      // 000000005E30: 7FD00280
	v_accvgpr_write_b32 a241, 0                                // 000000005E34: D3D940F1 18000080
	v_mov_b32_e32 v233, 0                                      // 000000005E3C: 7FD20280
	v_accvgpr_write_b32 a242, 0                                // 000000005E40: D3D940F2 18000080
	v_mov_b32_e32 v234, 0                                      // 000000005E48: 7FD40280
	v_accvgpr_write_b32 a243, 0                                // 000000005E4C: D3D940F3 18000080
	v_mov_b32_e32 v235, 0                                      // 000000005E54: 7FD60280
	v_accvgpr_write_b32 a244, 0                                // 000000005E58: D3D940F4 18000080
	v_mov_b32_e32 v236, 0                                      // 000000005E60: 7FD80280
	v_accvgpr_write_b32 a245, 0                                // 000000005E64: D3D940F5 18000080
	v_mov_b32_e32 v237, 0                                      // 000000005E6C: 7FDA0280
	v_accvgpr_write_b32 a246, 0                                // 000000005E70: D3D940F6 18000080
	v_mov_b32_e32 v238, 0                                      // 000000005E78: 7FDC0280
	v_accvgpr_write_b32 a247, 0                                // 000000005E7C: D3D940F7 18000080
	v_mov_b32_e32 v239, 0                                      // 000000005E84: 7FDE0280
	v_accvgpr_write_b32 a248, 0                                // 000000005E88: D3D940F8 18000080
	v_mov_b32_e32 v240, 0                                      // 000000005E90: 7FE00280
	v_accvgpr_write_b32 a249, 0                                // 000000005E94: D3D940F9 18000080
	v_mov_b32_e32 v241, 0                                      // 000000005E9C: 7FE20280
	v_accvgpr_write_b32 a250, 0                                // 000000005EA0: D3D940FA 18000080
	v_mov_b32_e32 v242, 0                                      // 000000005EA8: 7FE40280
	v_accvgpr_write_b32 a251, 0                                // 000000005EAC: D3D940FB 18000080
	v_mov_b32_e32 v243, 0                                      // 000000005EB4: 7FE60280
	v_accvgpr_write_b32 a252, 0                                // 000000005EB8: D3D940FC 18000080
	v_mov_b32_e32 v244, 0                                      // 000000005EC0: 7FE80280
	v_accvgpr_write_b32 a253, 0                                // 000000005EC4: D3D940FD 18000080
	v_mov_b32_e32 v245, 0                                      // 000000005ECC: 7FEA0280
	v_accvgpr_write_b32 a254, 0                                // 000000005ED0: D3D940FE 18000080
	v_mov_b32_e32 v246, 0                                      // 000000005ED8: 7FEC0280
	v_accvgpr_write_b32 a255, 0                                // 000000005EDC: D3D940FF 18000080
	v_mov_b32_e32 v247, 0                                      // 000000005EE4: 7FEE0280
	v_mov_b32_e32 v136, 0                                      // 000000005EE8: 7F100280
	v_mov_b32_e32 v137, 0                                      // 000000005EEC: 7F120280
	v_mov_b32_e32 v138, 0                                      // 000000005EF0: 7F140280
	v_mov_b32_e32 v139, 0                                      // 000000005EF4: 7F160280
	v_mov_b32_e32 v140, 0                                      // 000000005EF8: 7F180280
	v_mov_b32_e32 v141, 0                                      // 000000005EFC: 7F1A0280
	v_mov_b32_e32 v142, 0                                      // 000000005F00: 7F1C0280
	v_mov_b32_e32 v143, 0                                      // 000000005F04: 7F1E0280
	v_mov_b32_e32 v128, 0                                      // 000000005F08: 7F000280
	v_mov_b32_e32 v129, 0                                      // 000000005F0C: 7F020280
	v_mov_b32_e32 v130, 0                                      // 000000005F10: 7F040280
	v_mov_b32_e32 v131, 0                                      // 000000005F14: 7F060280
	v_mov_b32_e32 v132, 0                                      // 000000005F18: 7F080280
	v_mov_b32_e32 v133, 0                                      // 000000005F1C: 7F0A0280
	v_mov_b32_e32 v134, 0                                      // 000000005F20: 7F0C0280
	v_mov_b32_e32 v135, 0                                      // 000000005F24: 7F0E0280
	s_waitcnt lgkmcnt(0)                                       // 000000005F28: BF8CC07F
	s_barrier                                                  // 000000005F2C: BF8A0000
	buffer_load_dword v32, v1, s[8:11], 0 idxen                // 000000005F30: E0502000 80022001
	buffer_load_dword v33, v2, s[8:11], 0 idxen                // 000000005F38: E0502000 80022102
	buffer_load_dword v34, v3, s[8:11], 0 idxen                // 000000005F40: E0502000 80022203
	buffer_load_dword v35, v4, s[8:11], 0 idxen                // 000000005F48: E0502000 80022304
	buffer_load_dword v40, v252, s[20:23], 0 idxen             // 000000005F50: E0502000 800528FC
	buffer_load_dword v41, v253, s[20:23], 0 idxen             // 000000005F58: E0502000 800529FD
	buffer_load_dword v42, v254, s[20:23], 0 idxen             // 000000005F60: E0502000 80052AFE
	buffer_load_dword v43, v255, s[20:23], 0 idxen             // 000000005F68: E0502000 80052BFF
	buffer_load_dword v9, s[24:27], 0 idxen lds                // 000000005F70: E0512000 80060009
	s_mov_b32 m0, s81                                          // 000000005F78: BEFC0051
	v_add_u32_e32 v9, s69, v9                                  // 000000005F7C: 68121245
	v_add_u32_e32 v1, s68, v1                                  // 000000005F80: 68020244
	v_add_u32_e32 v2, s68, v2                                  // 000000005F84: 68040444
	v_add_u32_e32 v3, s68, v3                                  // 000000005F88: 68060644
	v_add_u32_e32 v4, s68, v4                                  // 000000005F8C: 68080844
	v_add_u32_e32 v252, s100, v252                             // 000000005F90: 69F9F864
	v_add_u32_e32 v253, s100, v253                             // 000000005F94: 69FBFA64
	v_add_u32_e32 v254, s100, v254                             // 000000005F98: 69FDFC64
	v_add_u32_e32 v255, s100, v255                             // 000000005F9C: 69FFFE64
	v_mul_f32_e32 v124, s48, v124                              // 000000005FA0: 0AF8F830
	v_perm_b32 v84, v37, v36, s63                              // 000000005FA4: D1ED0054 00FE4925
	v_perm_b32 v85, v37, v36, s64                              // 000000005FAC: D1ED0055 01024925
	v_perm_b32 v86, v39, v38, s63                              // 000000005FB4: D1ED0056 00FE4D27
	v_perm_b32 v87, v39, v38, s64                              // 000000005FBC: D1ED0057 01024D27
	v_perm_b32 v88, v45, v44, s63                              // 000000005FC4: D1ED0058 00FE592D
	v_perm_b32 v89, v45, v44, s64                              // 000000005FCC: D1ED0059 0102592D
	v_perm_b32 v90, v47, v46, s63                              // 000000005FD4: D1ED005A 00FE5D2F
	v_perm_b32 v91, v47, v46, s64                              // 000000005FDC: D1ED005B 01025D2F
	v_mov_b32_dpp v127, v124 quad_perm:[3,3,3,3] row_mask:0xf bank_mask:0xf// 000000005FE4: 7EFE02FA FF00FF7C
	v_mov_b32_dpp v126, v124 quad_perm:[2,2,2,2] row_mask:0xf bank_mask:0xf// 000000005FEC: 7EFC02FA FF00AA7C
	v_mov_b32_dpp v125, v124 quad_perm:[1,1,1,1] row_mask:0xf bank_mask:0xf// 000000005FF4: 7EFA02FA FF00557C
	v_mov_b32_dpp v124, v124 quad_perm:[0,0,0,0] row_mask:0xf bank_mask:0xf// 000000005FFC: 7EF802FA FF00007C
	s_waitcnt vmcnt(9)                                         // 000000006004: BF8C0F79
	s_barrier                                                  // 000000006008: BF8A0000
	s_cmp_lt_i32 s46, 2                                        // 00000000600C: BF04822E
	s_cbranch_scc0 label_0E9F                                  // 000000006010: BF840610
	s_nop 0                                                    // 000000006014: BF800000
	s_nop 0                                                    // 000000006018: BF800000

000000000000601c <label_0887>:
	s_waitcnt lgkmcnt(0)                                       // 00000000601C: BF8CC07F
	s_barrier                                                  // 000000006020: BF8A0000
	v_mfma_f32_16x16x16_bf16 v[48:51], a[144:145], a[0:1], 0   // 000000006024: D3E10030 1A020190
	ds_write_b32 v11, v44 offset:8704                          // 00000000602C: D81A2200 00002C0B
	ds_write_b32 v11, v45 offset:9760                          // 000000006034: D81A2620 00002D0B
	v_mfma_f32_16x16x16_bf16 v[48:51], a[146:147], a[2:3], v[48:51]// 00000000603C: D3E10030 1CC20592
	v_mul_f32_e32 v128, s47, v128                              // 000000006044: 0B01002F
	v_mul_f32_e32 v129, s47, v129                              // 000000006048: 0B03022F
	v_mfma_f32_16x16x16_bf16 v[48:51], a[148:149], a[4:5], v[48:51]// 00000000604C: D3E10030 1CC20994
	ds_write_b32 v11, v46 offset:8832                          // 000000006054: D81A2280 00002E0B
	ds_write_b32 v11, v47 offset:9888                          // 00000000605C: D81A26A0 00002F0B
	v_mfma_f32_16x16x16_bf16 v[48:51], a[150:151], a[6:7], v[48:51]// 000000006064: D3E10030 1CC20D96
	v_mul_f32_e32 v130, s47, v130                              // 00000000606C: 0B05042F
	v_mul_f32_e32 v131, s47, v131                              // 000000006070: 0B07062F
	v_mfma_f32_16x16x16_bf16 v[48:51], a[152:153], a[8:9], v[48:51]// 000000006074: D3E10030 1CC21198
	ds_write_b64 v20, v[128:129] offset:24320                  // 00000000607C: D89A5F00 00008014
	v_mfma_f32_16x16x16_bf16 v[48:51], a[154:155], a[10:11], v[48:51]// 000000006084: D3E10030 1CC2159A
	v_mul_f32_e32 v132, s47, v132                              // 00000000608C: 0B09082F
	v_mul_f32_e32 v133, s47, v133                              // 000000006090: 0B0B0A2F
	v_mfma_f32_16x16x16_bf16 v[48:51], a[156:157], a[12:13], v[48:51]// 000000006094: D3E10030 1CC2199C
	ds_write_b64 v20, v[130:131] offset:24832                  // 00000000609C: D89A6100 00008214
	v_mfma_f32_16x16x16_bf16 v[48:51], a[158:159], a[14:15], v[48:51]// 0000000060A4: D3E10030 1CC21D9E
	v_mul_f32_e32 v134, s47, v134                              // 0000000060AC: 0B0D0C2F
	v_mul_f32_e32 v135, s47, v135                              // 0000000060B0: 0B0F0E2F
	v_mfma_f32_16x16x16_bf16 v[52:55], a[144:145], a[16:17], 0 // 0000000060B4: D3E10034 1A022190
	ds_write_b64 v20, v[132:133] offset:25344                  // 0000000060BC: D89A6300 00008414
	v_mfma_f32_16x16x16_bf16 v[52:55], a[146:147], a[18:19], v[52:55]// 0000000060C4: D3E10034 1CD22592
	buffer_atomic_add_f32 v140, v7, s[32:35], 0 offen offset:256// 0000000060CC: E1341100 80088C07
	v_mfma_f32_16x16x16_bf16 v[52:55], a[148:149], a[20:21], v[52:55]// 0000000060D4: D3E10034 1CD22994
	ds_write_b64 v20, v[134:135] offset:25856                  // 0000000060DC: D89A6500 00008614
	v_mfma_f32_16x16x16_bf16 v[52:55], a[150:151], a[22:23], v[52:55]// 0000000060E4: D3E10034 1CD22D96
	v_mfma_f32_16x16x16_bf16 v[52:55], a[152:153], a[24:25], v[52:55]// 0000000060EC: D3E10034 1CD23198
	ds_read_b128 v[108:111], v12 offset:13056                  // 0000000060F4: D9FE3300 6C00000C
	ds_write_b32 v11, v36                                      // 0000000060FC: D81A0000 0000240B
	v_mfma_f32_16x16x16_bf16 v[52:55], a[154:155], a[26:27], v[52:55]// 000000006104: D3E10034 1CD2359A
	buffer_atomic_add_f32 v141, v8, s[32:35], 0 offen offset:256// 00000000610C: E1341100 80088D08
	v_mfma_f32_16x16x16_bf16 v[52:55], a[156:157], a[28:29], v[52:55]// 000000006114: D3E10034 1CD2399C
	v_mfma_f32_16x16x16_bf16 v[52:55], a[158:159], a[30:31], v[52:55]// 00000000611C: D3E10034 1CD23D9E
	ds_read_b128 v[112:115], v12 offset:13568                  // 000000006124: D9FE3500 7000000C
	ds_write_b32 v11, v37 offset:1056                          // 00000000612C: D81A0420 0000250B
	v_mfma_f32_16x16x16_bf16 v[56:59], a[144:145], a[32:33], 0 // 000000006134: D3E10038 1A024190
	buffer_atomic_add_f32 v142, v7, s[32:35], 0 offen offset:384// 00000000613C: E1341180 80088E07
	v_mfma_f32_16x16x16_bf16 v[56:59], a[146:147], a[34:35], v[56:59]// 000000006144: D3E10038 1CE24592
	v_mfma_f32_16x16x16_bf16 v[56:59], a[148:149], a[36:37], v[56:59]// 00000000614C: D3E10038 1CE24994
	ds_read_b128 v[116:119], v12 offset:15232                  // 000000006154: D9FE3B80 7400000C
	ds_write_b32 v11, v38 offset:128                           // 00000000615C: D81A0080 0000260B
	v_mfma_f32_16x16x16_bf16 v[56:59], a[150:151], a[38:39], v[56:59]// 000000006164: D3E10038 1CE24D96
	v_mfma_f32_16x16x16_bf16 v[56:59], a[152:153], a[40:41], v[56:59]// 00000000616C: D3E10038 1CE25198
	buffer_atomic_add_f32 v143, v8, s[32:35], 0 offen offset:384// 000000006174: E1341180 80088F08
	v_mfma_f32_16x16x16_bf16 v[56:59], a[154:155], a[42:43], v[56:59]// 00000000617C: D3E10038 1CE2559A
	ds_read_b128 v[120:123], v12 offset:15744                  // 000000006184: D9FE3D80 7800000C
	ds_write_b32 v11, v39 offset:1184                          // 00000000618C: D81A04A0 0000270B
	v_mfma_f32_16x16x16_bf16 v[56:59], a[156:157], a[44:45], v[56:59]// 000000006194: D3E10038 1CE2599C
	v_mfma_f32_16x16x16_bf16 v[56:59], a[158:159], a[46:47], v[56:59]// 00000000619C: D3E10038 1CE25D9E
	s_cmp_lt_i32 s74, 12                                       // 0000000061A4: BF048C4A
	s_cbranch_scc0 label_0960                                  // 0000000061A8: BF840075
	s_mov_b32 s60, 0xffe0fffe                                  // 0000000061AC: BEBC00FF FFE0FFFE
	s_mov_b32 s61, 0xe000fe00                                  // 0000000061B4: BEBD00FF E000FE00
	s_nop 0                                                    // 0000000061BC: BF800000
	s_add_u32 s62, 0, s46                                      // 0000000061C0: 803E2E80
	s_cmp_lt_i32 s74, s62                                      // 0000000061C4: BF043E4A
	s_cbranch_scc1 label_091B                                  // 0000000061C8: BF850028
	s_cmp_eq_i32 s74, s62                                      // 0000000061CC: BF003E4A
	s_cbranch_scc1 label_0900                                  // 0000000061D0: BF85000B
	s_add_u32 s62, 4, s46                                      // 0000000061D4: 803E2E84
	s_cmp_lt_i32 s74, s62                                      // 0000000061D8: BF043E4A
	s_cbranch_scc1 label_093B                                  // 0000000061DC: BF850043
	s_cmp_eq_i32 s74, s62                                      // 0000000061E0: BF003E4A
	s_cbranch_scc1 label_0920                                  // 0000000061E4: BF850026
	s_add_u32 s62, 8, s46                                      // 0000000061E8: 803E2E88
	s_cmp_lt_i32 s74, s62                                      // 0000000061EC: BF043E4A
	s_cbranch_scc1 label_095B                                  // 0000000061F0: BF85005E
	s_cmp_eq_i32 s74, s62                                      // 0000000061F4: BF003E4A
	s_cbranch_scc1 label_0940                                  // 0000000061F8: BF850041
	s_branch label_0960                                        // 0000000061FC: BF820060

0000000000006200 <label_0900>:
	v_cndmask_b32_e64 v48, v48, v151, s[60:61]                 // 000000006200: D1000030 00F32F30
	s_lshl_b32 s60, s60, 1                                     // 000000006208: 8E3C813C
	s_lshl_b32 s61, s61, 1                                     // 00000000620C: 8E3D813D
	s_and_b32 s60, 0xfffeffff, s60                             // 000000006210: 863C3CFF FFFEFFFF
	s_and_b32 s61, 0xfffeffff, s61                             // 000000006218: 863D3DFF FFFEFFFF
	v_cndmask_b32_e64 v49, v49, v151, s[60:61]                 // 000000006220: D1000031 00F32F31
	s_lshl_b32 s60, s60, 1                                     // 000000006228: 8E3C813C
	s_lshl_b32 s61, s61, 1                                     // 00000000622C: 8E3D813D
	s_and_b32 s60, 0xfffeffff, s60                             // 000000006230: 863C3CFF FFFEFFFF
	s_and_b32 s61, 0xfffeffff, s61                             // 000000006238: 863D3DFF FFFEFFFF
	v_cndmask_b32_e64 v50, v50, v151, s[60:61]                 // 000000006240: D1000032 00F32F32
	s_lshl_b32 s60, s60, 1                                     // 000000006248: 8E3C813C
	s_lshl_b32 s61, s61, 1                                     // 00000000624C: 8E3D813D
	s_and_b32 s60, 0xfffeffff, s60                             // 000000006250: 863C3CFF FFFEFFFF
	s_and_b32 s61, 0xfffeffff, s61                             // 000000006258: 863D3DFF FFFEFFFF
	v_cndmask_b32_e64 v51, v51, v151, s[60:61]                 // 000000006260: D1000033 00F32F33
	s_branch label_093B                                        // 000000006268: BF820020

000000000000626c <label_091B>:
	v_mov_b32_e32 v48, v151                                    // 00000000626C: 7E600397
	v_mov_b32_e32 v49, v151                                    // 000000006270: 7E620397
	v_mov_b32_e32 v50, v151                                    // 000000006274: 7E640397
	v_mov_b32_e32 v51, v151                                    // 000000006278: 7E660397
	s_branch label_093B                                        // 00000000627C: BF82001B

0000000000006280 <label_0920>:
	v_cndmask_b32_e64 v52, v52, v151, s[60:61]                 // 000000006280: D1000034 00F32F34
	s_lshl_b32 s60, s60, 1                                     // 000000006288: 8E3C813C
	s_lshl_b32 s61, s61, 1                                     // 00000000628C: 8E3D813D
	s_and_b32 s60, 0xfffeffff, s60                             // 000000006290: 863C3CFF FFFEFFFF
	s_and_b32 s61, 0xfffeffff, s61                             // 000000006298: 863D3DFF FFFEFFFF
	v_cndmask_b32_e64 v53, v53, v151, s[60:61]                 // 0000000062A0: D1000035 00F32F35
	s_lshl_b32 s60, s60, 1                                     // 0000000062A8: 8E3C813C
	s_lshl_b32 s61, s61, 1                                     // 0000000062AC: 8E3D813D
	s_and_b32 s60, 0xfffeffff, s60                             // 0000000062B0: 863C3CFF FFFEFFFF
	s_and_b32 s61, 0xfffeffff, s61                             // 0000000062B8: 863D3DFF FFFEFFFF
	v_cndmask_b32_e64 v54, v54, v151, s[60:61]                 // 0000000062C0: D1000036 00F32F36
	s_lshl_b32 s60, s60, 1                                     // 0000000062C8: 8E3C813C
	s_lshl_b32 s61, s61, 1                                     // 0000000062CC: 8E3D813D
	s_and_b32 s60, 0xfffeffff, s60                             // 0000000062D0: 863C3CFF FFFEFFFF
	s_and_b32 s61, 0xfffeffff, s61                             // 0000000062D8: 863D3DFF FFFEFFFF
	v_cndmask_b32_e64 v55, v55, v151, s[60:61]                 // 0000000062E0: D1000037 00F32F37
	s_branch label_095B                                        // 0000000062E8: BF820020

00000000000062ec <label_093B>:
	v_mov_b32_e32 v52, v151                                    // 0000000062EC: 7E680397
	v_mov_b32_e32 v53, v151                                    // 0000000062F0: 7E6A0397
	v_mov_b32_e32 v54, v151                                    // 0000000062F4: 7E6C0397
	v_mov_b32_e32 v55, v151                                    // 0000000062F8: 7E6E0397
	s_branch label_095B                                        // 0000000062FC: BF82001B

0000000000006300 <label_0940>:
	v_cndmask_b32_e64 v56, v56, v151, s[60:61]                 // 000000006300: D1000038 00F32F38
	s_lshl_b32 s60, s60, 1                                     // 000000006308: 8E3C813C
	s_lshl_b32 s61, s61, 1                                     // 00000000630C: 8E3D813D
	s_and_b32 s60, 0xfffeffff, s60                             // 000000006310: 863C3CFF FFFEFFFF
	s_and_b32 s61, 0xfffeffff, s61                             // 000000006318: 863D3DFF FFFEFFFF
	v_cndmask_b32_e64 v57, v57, v151, s[60:61]                 // 000000006320: D1000039 00F32F39
	s_lshl_b32 s60, s60, 1                                     // 000000006328: 8E3C813C
	s_lshl_b32 s61, s61, 1                                     // 00000000632C: 8E3D813D
	s_and_b32 s60, 0xfffeffff, s60                             // 000000006330: 863C3CFF FFFEFFFF
	s_and_b32 s61, 0xfffeffff, s61                             // 000000006338: 863D3DFF FFFEFFFF
	v_cndmask_b32_e64 v58, v58, v151, s[60:61]                 // 000000006340: D100003A 00F32F3A
	s_lshl_b32 s60, s60, 1                                     // 000000006348: 8E3C813C
	s_lshl_b32 s61, s61, 1                                     // 00000000634C: 8E3D813D
	s_and_b32 s60, 0xfffeffff, s60                             // 000000006350: 863C3CFF FFFEFFFF
	s_and_b32 s61, 0xfffeffff, s61                             // 000000006358: 863D3DFF FFFEFFFF
	v_cndmask_b32_e64 v59, v59, v151, s[60:61]                 // 000000006360: D100003B 00F32F3B
	s_branch label_0960                                        // 000000006368: BF820005

000000000000636c <label_095B>:
	v_mov_b32_e32 v56, v151                                    // 00000000636C: 7E700397
	v_mov_b32_e32 v57, v151                                    // 000000006370: 7E720397
	v_mov_b32_e32 v58, v151                                    // 000000006374: 7E740397
	v_mov_b32_e32 v59, v151                                    // 000000006378: 7E760397
	s_branch label_0960                                        // 00000000637C: BF820000

0000000000006380 <label_0960>:
	s_cmp_lt_i32 s84, 0xc0                                     // 000000006380: BF04FF54 000000C0
	s_cbranch_scc0 label_09B5                                  // 000000006388: BF84004D
	s_cmp_le_i32 s84, 64                                       // 00000000638C: BF05C054
	s_cbranch_scc1 label_096C                                  // 000000006390: BF850007
	s_cmp_le_i32 s84, 0x80                                     // 000000006394: BF05FF54 00000080
	s_cbranch_scc1 label_0984                                  // 00000000639C: BF850017
	s_cmp_lt_i32 s84, 0xc0                                     // 0000000063A0: BF04FF54 000000C0
	s_cbranch_scc1 label_099C                                  // 0000000063A8: BF85002C
	s_branch label_09B5                                        // 0000000063AC: BF820044

00000000000063b0 <label_096C>:
	s_mov_b32 s60, 0                                           // 0000000063B0: BEBC0080
	v_and_b32_e32 v28, 15, v0                                  // 0000000063B4: 2638008F
	v_add_u32_e64 v28, v28, s60                                // 0000000063B8: D134001C 0000791C
	v_mul_i32_i24_e64 v29, s46, 16                             // 0000000063C0: D106001D 0001202E
	v_add_u32_e32 v28, v28, v29                                // 0000000063C8: 68383B1C
	v_cmp_lt_u32_e64 s[60:61], v28, s84                        // 0000000063CC: D0C9003C 0000A91C
	s_nop 1                                                    // 0000000063D4: BF800001
	v_cndmask_b32_e64 v48, v151, v48, s[60:61]                 // 0000000063D8: D1000030 00F26197
	v_cndmask_b32_e64 v49, v151, v49, s[60:61]                 // 0000000063E0: D1000031 00F26397
	v_cndmask_b32_e64 v50, v151, v50, s[60:61]                 // 0000000063E8: D1000032 00F26597
	v_cndmask_b32_e64 v51, v151, v51, s[60:61]                 // 0000000063F0: D1000033 00F26797
	s_branch label_0997                                        // 0000000063F8: BF820013

00000000000063fc <label_0984>:
	s_mov_b32 s60, 64                                          // 0000000063FC: BEBC00C0
	v_and_b32_e32 v28, 15, v0                                  // 000000006400: 2638008F
	v_add_u32_e64 v28, v28, s60                                // 000000006404: D134001C 0000791C
	v_mul_i32_i24_e64 v29, s46, 16                             // 00000000640C: D106001D 0001202E
	v_add_u32_e32 v28, v28, v29                                // 000000006414: 68383B1C
	v_cmp_lt_u32_e64 s[60:61], v28, s84                        // 000000006418: D0C9003C 0000A91C
	s_nop 1                                                    // 000000006420: BF800001
	v_cndmask_b32_e64 v52, v151, v52, s[60:61]                 // 000000006424: D1000034 00F26997
	v_cndmask_b32_e64 v53, v151, v53, s[60:61]                 // 00000000642C: D1000035 00F26B97
	v_cndmask_b32_e64 v54, v151, v54, s[60:61]                 // 000000006434: D1000036 00F26D97
	v_cndmask_b32_e64 v55, v151, v55, s[60:61]                 // 00000000643C: D1000037 00F26F97
	s_branch label_09B0                                        // 000000006444: BF820019

0000000000006448 <label_0997>:
	v_mov_b32_e32 v52, v151                                    // 000000006448: 7E680397
	v_mov_b32_e32 v53, v151                                    // 00000000644C: 7E6A0397
	v_mov_b32_e32 v54, v151                                    // 000000006450: 7E6C0397
	v_mov_b32_e32 v55, v151                                    // 000000006454: 7E6E0397
	s_branch label_09B0                                        // 000000006458: BF820014

000000000000645c <label_099C>:
	s_mov_b32 s60, 0x80                                        // 00000000645C: BEBC00FF 00000080
	v_and_b32_e32 v28, 15, v0                                  // 000000006464: 2638008F
	v_add_u32_e64 v28, v28, s60                                // 000000006468: D134001C 0000791C
	v_mul_i32_i24_e64 v29, s46, 16                             // 000000006470: D106001D 0001202E
	v_add_u32_e32 v28, v28, v29                                // 000000006478: 68383B1C
	v_cmp_lt_u32_e64 s[60:61], v28, s84                        // 00000000647C: D0C9003C 0000A91C
	s_nop 1                                                    // 000000006484: BF800001
	v_cndmask_b32_e64 v56, v151, v56, s[60:61]                 // 000000006488: D1000038 00F27197
	v_cndmask_b32_e64 v57, v151, v57, s[60:61]                 // 000000006490: D1000039 00F27397
	v_cndmask_b32_e64 v58, v151, v58, s[60:61]                 // 000000006498: D100003A 00F27597
	v_cndmask_b32_e64 v59, v151, v59, s[60:61]                 // 0000000064A0: D100003B 00F27797
	s_branch label_09B5                                        // 0000000064A8: BF820005

00000000000064ac <label_09B0>:
	v_mov_b32_e32 v56, v151                                    // 0000000064AC: 7E700397
	v_mov_b32_e32 v57, v151                                    // 0000000064B0: 7E720397
	v_mov_b32_e32 v58, v151                                    // 0000000064B4: 7E740397
	v_mov_b32_e32 v59, v151                                    // 0000000064B8: 7E760397
	s_branch label_09B5                                        // 0000000064BC: BF820000

00000000000064c0 <label_09B5>:
	s_addk_i32 s74, 0x1                                        // 0000000064C0: B74A0001
	s_waitcnt lgkmcnt(8)                                       // 0000000064C4: BF8CC87F
	s_barrier                                                  // 0000000064C8: BF8A0000
	v_mfma_f32_16x16x16_bf16 v[72:75], v[92:93], a[96:97], 0   // 0000000064CC: D3E10048 1202C15C
	ds_read_b128 a[144:147], v12 offset:4352                   // 0000000064D4: DBFE1100 9000000C
	ds_read_b128 a[148:151], v12 offset:4864                   // 0000000064DC: DBFE1300 9400000C
	v_mfma_f32_16x16x16_bf16 v[72:75], v[94:95], a[98:99], v[72:75]// 0000000064E4: D3E10048 1522C55E
	v_fma_f32 v48, v48, s57, -v124                             // 0000000064EC: D1CB0030 85F07330
	v_fma_f32 v49, v49, s57, -v125                             // 0000000064F4: D1CB0031 85F47331
	v_fma_f32 v50, v50, s57, -v126                             // 0000000064FC: D1CB0032 85F87332
	v_mfma_f32_16x16x16_bf16 v[72:75], v[96:97], a[100:101], v[72:75]// 000000006504: D3E10048 1522C960
	v_fma_f32 v51, v51, s57, -v127                             // 00000000650C: D1CB0033 85FC7333
	v_fma_f32 v52, v52, s57, -v124                             // 000000006514: D1CB0034 85F07334
	v_fma_f32 v53, v53, s57, -v125                             // 00000000651C: D1CB0035 85F47335
	v_mfma_f32_16x16x16_bf16 v[72:75], v[98:99], a[102:103], v[72:75]// 000000006524: D3E10048 1522CD62
	v_fma_f32 v54, v54, s57, -v126                             // 00000000652C: D1CB0036 85F87336
	v_fma_f32 v55, v55, s57, -v127                             // 000000006534: D1CB0037 85FC7337
	v_fma_f32 v56, v56, s57, -v124                             // 00000000653C: D1CB0038 85F07338
	v_mfma_f32_16x16x16_bf16 v[72:75], v[100:101], a[104:105], v[72:75]// 000000006544: D3E10048 1522D164
	ds_read_b128 a[152:155], v12 offset:6528                   // 00000000654C: DBFE1980 9800000C
	ds_read_b128 a[156:159], v12 offset:7040                   // 000000006554: DBFE1B80 9C00000C
	v_mfma_f32_16x16x16_bf16 v[72:75], v[102:103], a[106:107], v[72:75]// 00000000655C: D3E10048 1522D566
	v_fma_f32 v57, v57, s57, -v125                             // 000000006564: D1CB0039 85F47339
	v_fma_f32 v58, v58, s57, -v126                             // 00000000656C: D1CB003A 85F8733A
	v_fma_f32 v59, v59, s57, -v127                             // 000000006574: D1CB003B 85FC733B
	v_mfma_f32_16x16x16_bf16 v[72:75], v[104:105], a[108:109], v[72:75]// 00000000657C: D3E10048 1522D968
	v_exp_f32_e32 v48, v48                                     // 000000006584: 7E604130
	v_mfma_f32_16x16x16_bf16 v[72:75], v[106:107], a[110:111], v[72:75]// 000000006588: D3E10048 1522DD6A
	v_exp_f32_e32 v49, v49                                     // 000000006590: 7E624131
	v_mfma_f32_16x16x16_bf16 v[76:79], v[92:93], a[112:113], 0 // 000000006594: D3E1004C 1202E15C
	ds_read_b64 v[136:137], v19 offset:24320                   // 00000000659C: D8EC5F00 88000013
	ds_read_b64 v[138:139], v19 offset:26368                   // 0000000065A4: D8EC6700 8A000013
	v_mfma_f32_16x16x16_bf16 v[76:79], v[94:95], a[114:115], v[76:79]// 0000000065AC: D3E1004C 1532E55E
	v_exp_f32_e32 v50, v50                                     // 0000000065B4: 7E644132
	v_mfma_f32_16x16x16_bf16 v[76:79], v[96:97], a[116:117], v[76:79]// 0000000065B8: D3E1004C 1532E960
	ds_read_b64 v[140:141], v19 offset:28416                   // 0000000065C0: D8EC6F00 8C000013
	ds_read_b64 v[142:143], v19 offset:30464                   // 0000000065C8: D8EC7700 8E000013
	v_mfma_f32_16x16x16_bf16 v[76:79], v[98:99], a[118:119], v[76:79]// 0000000065D0: D3E1004C 1532ED62
	v_exp_f32_e32 v51, v51                                     // 0000000065D8: 7E664133
	v_mfma_f32_16x16x16_bf16 v[76:79], v[100:101], a[120:121], v[76:79]// 0000000065DC: D3E1004C 1532F164
	v_exp_f32_e32 v52, v52                                     // 0000000065E4: 7E684134
	v_mfma_f32_16x16x16_bf16 v[76:79], v[102:103], a[122:123], v[76:79]// 0000000065E8: D3E1004C 1532F566
	v_exp_f32_e32 v53, v53                                     // 0000000065F0: 7E6A4135
	v_mfma_f32_16x16x16_bf16 v[76:79], v[104:105], a[124:125], v[76:79]// 0000000065F4: D3E1004C 1532F968
	v_exp_f32_e32 v54, v54                                     // 0000000065FC: 7E6C4136
	v_mfma_f32_16x16x16_bf16 v[76:79], v[106:107], a[126:127], v[76:79]// 000000006600: D3E1004C 1532FD6A
	v_exp_f32_e32 v55, v55                                     // 000000006608: 7E6E4137
	v_mfma_f32_16x16x16_bf16 v[80:83], v[92:93], a[128:129], 0 // 00000000660C: D3E10050 1203015C
	v_exp_f32_e32 v56, v56                                     // 000000006614: 7E704138
	v_mfma_f32_16x16x16_bf16 v[80:83], v[94:95], a[130:131], v[80:83]// 000000006618: D3E10050 1543055E
	v_exp_f32_e32 v57, v57                                     // 000000006620: 7E724139
	v_mfma_f32_16x16x16_bf16 v[80:83], v[96:97], a[132:133], v[80:83]// 000000006624: D3E10050 15430960
	v_exp_f32_e32 v58, v58                                     // 00000000662C: 7E74413A
	v_mfma_f32_16x16x16_bf16 v[80:83], v[98:99], a[134:135], v[80:83]// 000000006630: D3E10050 15430D62
	v_exp_f32_e32 v59, v59                                     // 000000006638: 7E76413B
	v_mfma_f32_16x16x16_bf16 v[80:83], v[100:101], a[136:137], v[80:83]// 00000000663C: D3E10050 15431164
	v_perm_b32 v144, v49, v48, s64                             // 000000006644: D1ED0090 01026131
	v_perm_b32 v145, v51, v50, s64                             // 00000000664C: D1ED0091 01026533
	v_perm_b32 v146, v53, v52, s64                             // 000000006654: D1ED0092 01026935
	v_mfma_f32_16x16x16_bf16 v[80:83], v[102:103], a[138:139], v[80:83]// 00000000665C: D3E10050 15431566
	v_perm_b32 v147, v55, v54, s64                             // 000000006664: D1ED0093 01026D37
	v_perm_b32 v148, v57, v56, s64                             // 00000000666C: D1ED0094 01027139
	v_perm_b32 v149, v59, v58, s64                             // 000000006674: D1ED0095 0102753B
	v_mfma_f32_16x16x16_bf16 v[80:83], v[104:105], a[140:141], v[80:83]// 00000000667C: D3E10050 15431968
	v_add_u32_e32 v7, s66, v7                                  // 000000006684: 680E0E42
	v_add_u32_e32 v8, s66, v8                                  // 000000006688: 68101042
	v_mfma_f32_16x16x16_bf16 v[80:83], v[106:107], a[142:143], v[80:83]// 00000000668C: D3E10050 15431D6A
	s_waitcnt lgkmcnt(0)                                       // 000000006694: BF8CC07F
	s_barrier                                                  // 000000006698: BF8A0000
	v_mfma_f32_16x16x16_bf16 v[152:155], v[108:109], v[144:145], v[152:155]// 00000000669C: D3E10098 0663216C
	v_subrev_f32_dpp v72, v150, v72 quad_perm:[0,0,0,0] row_mask:0xf bank_mask:0xf// 0000000066A4: 069090FA FF000096
	v_subrev_f32_dpp v73, v150, v73 quad_perm:[1,1,1,1] row_mask:0xf bank_mask:0xf// 0000000066AC: 069292FA FF005596
	v_subrev_f32_dpp v74, v150, v74 quad_perm:[2,2,2,2] row_mask:0xf bank_mask:0xf// 0000000066B4: 069494FA FF00AA96
	v_mfma_f32_16x16x16_bf16 v[156:159], v[110:111], v[144:145], v[156:159]// 0000000066BC: D3E1009C 0673216E
	v_subrev_f32_dpp v75, v150, v75 quad_perm:[3,3,3,3] row_mask:0xf bank_mask:0xf// 0000000066C4: 069696FA FF00FF96
	v_subrev_f32_dpp v76, v150, v76 quad_perm:[0,0,0,0] row_mask:0xf bank_mask:0xf// 0000000066CC: 069898FA FF000096
	v_subrev_f32_dpp v77, v150, v77 quad_perm:[1,1,1,1] row_mask:0xf bank_mask:0xf// 0000000066D4: 069A9AFA FF005596
	v_mfma_f32_16x16x16_bf16 v[160:163], v[112:113], v[144:145], v[160:163]// 0000000066DC: D3E100A0 06832170
	v_mul_f32_e32 v72, v48, v72                                // 0000000066E4: 0A909130
	v_mul_f32_e32 v73, v49, v73                                // 0000000066E8: 0A929331
	v_mul_f32_e32 v74, v50, v74                                // 0000000066EC: 0A949532
	v_mfma_f32_16x16x16_bf16 v[164:167], v[114:115], v[144:145], v[164:167]// 0000000066F0: D3E100A4 06932172
	v_mul_f32_e32 v75, v51, v75                                // 0000000066F8: 0A969733
	v_mul_f32_e32 v76, v52, v76                                // 0000000066FC: 0A989934
	v_mul_f32_e32 v77, v53, v77                                // 000000006700: 0A9A9B35
	v_mfma_f32_16x16x16_bf16 v[168:171], v[116:117], v[144:145], v[168:171]// 000000006704: D3E100A8 06A32174
	v_perm_b32 v72, v73, v72, s64                              // 00000000670C: D1ED0048 01029149
	v_perm_b32 v73, v75, v74, s64                              // 000000006714: D1ED0049 0102954B
	v_perm_b32 v74, v77, v76, s64                              // 00000000671C: D1ED004A 0102994D
	v_mfma_f32_16x16x16_bf16 v[172:175], v[118:119], v[144:145], v[172:175]// 000000006724: D3E100AC 06B32176
	v_mov_b32_dpp v16, v72 quad_perm:[1,0,3,2] row_mask:0xf bank_mask:0xf// 00000000672C: 7E2002FA FF00B148
	v_perm_b32 v48, v16, v72, v15                              // 000000006734: D1ED0030 043E9110
	v_mov_b32_dpp v16, v73 quad_perm:[1,0,3,2] row_mask:0xf bank_mask:0xf// 00000000673C: 7E2002FA FF00B149
	v_mfma_f32_16x16x16_bf16 v[176:179], v[120:121], v[144:145], v[176:179]// 000000006744: D3E100B0 06C32178
	v_perm_b32 v49, v16, v73, v15                              // 00000000674C: D1ED0031 043E9310
	v_mov_b32_dpp v16, v74 quad_perm:[1,0,3,2] row_mask:0xf bank_mask:0xf// 000000006754: 7E2002FA FF00B14A
	v_perm_b32 v50, v16, v74, v15                              // 00000000675C: D1ED0032 043E9510
	v_mfma_f32_16x16x16_bf16 v[180:183], v[122:123], v[144:145], v[180:183]// 000000006764: D3E100B4 06D3217A
	ds_write_b32 v18, v48 offset:17408                         // 00000000676C: D81A4400 00003012
	v_mfma_f32_16x16x16_bf16 v[184:187], v[108:109], v[146:147], v[184:187]// 000000006774: D3E100B8 06E3256C
	v_subrev_f32_dpp v78, v150, v78 quad_perm:[2,2,2,2] row_mask:0xf bank_mask:0xf// 00000000677C: 069C9CFA FF00AA96
	v_subrev_f32_dpp v79, v150, v79 quad_perm:[3,3,3,3] row_mask:0xf bank_mask:0xf// 000000006784: 069E9EFA FF00FF96
	v_subrev_f32_dpp v80, v150, v80 quad_perm:[0,0,0,0] row_mask:0xf bank_mask:0xf// 00000000678C: 06A0A0FA FF000096
	v_mfma_f32_16x16x16_bf16 v[188:191], v[110:111], v[146:147], v[188:191]// 000000006794: D3E100BC 06F3256E
	ds_write_b32 v18, v49 offset:17952                         // 00000000679C: D81A4620 00003112
	v_mfma_f32_16x16x16_bf16 v[192:195], v[112:113], v[146:147], v[192:195]// 0000000067A4: D3E100C0 07032570
	v_subrev_f32_dpp v81, v150, v81 quad_perm:[1,1,1,1] row_mask:0xf bank_mask:0xf// 0000000067AC: 06A2A2FA FF005596
	v_subrev_f32_dpp v82, v150, v82 quad_perm:[2,2,2,2] row_mask:0xf bank_mask:0xf// 0000000067B4: 06A4A4FA FF00AA96
	v_subrev_f32_dpp v83, v150, v83 quad_perm:[3,3,3,3] row_mask:0xf bank_mask:0xf// 0000000067BC: 06A6A6FA FF00FF96
	v_mfma_f32_16x16x16_bf16 v[196:199], v[114:115], v[146:147], v[196:199]// 0000000067C4: D3E100C4 07132572
	ds_write_b32 v18, v50 offset:19712                         // 0000000067CC: D81A4D00 00003212
	v_mfma_f32_16x16x16_bf16 v[200:203], v[116:117], v[146:147], v[200:203]// 0000000067D4: D3E100C8 07232574
	v_mul_f32_e32 v78, v54, v78                                // 0000000067DC: 0A9C9D36
	v_mul_f32_e32 v79, v55, v79                                // 0000000067E0: 0A9E9F37
	v_mul_f32_e32 v80, v56, v80                                // 0000000067E4: 0AA0A138
	v_mfma_f32_16x16x16_bf16 v[204:207], v[118:119], v[146:147], v[204:207]// 0000000067E8: D3E100CC 07332576
	v_mul_f32_e32 v81, v57, v81                                // 0000000067F0: 0AA2A339
	v_mul_f32_e32 v82, v58, v82                                // 0000000067F4: 0AA4A53A
	v_mul_f32_e32 v83, v59, v83                                // 0000000067F8: 0AA6A73B
	v_mfma_f32_16x16x16_bf16 v[208:211], v[120:121], v[146:147], v[208:211]// 0000000067FC: D3E100D0 07432578
	v_perm_b32 v75, v79, v78, s64                              // 000000006804: D1ED004B 01029D4F
	v_perm_b32 v76, v81, v80, s64                              // 00000000680C: D1ED004C 0102A151
	v_perm_b32 v77, v83, v82, s64                              // 000000006814: D1ED004D 0102A553
	v_mfma_f32_16x16x16_bf16 v[212:215], v[122:123], v[146:147], v[212:215]// 00000000681C: D3E100D4 0753257A
	v_mov_b32_dpp v16, v75 quad_perm:[1,0,3,2] row_mask:0xf bank_mask:0xf// 000000006824: 7E2002FA FF00B14B
	v_perm_b32 v51, v16, v75, v15                              // 00000000682C: D1ED0033 043E9710
	v_mov_b32_dpp v16, v76 quad_perm:[1,0,3,2] row_mask:0xf bank_mask:0xf// 000000006834: 7E2002FA FF00B14C
	v_mfma_f32_16x16x16_bf16 v[216:219], v[108:109], v[148:149], v[216:219]// 00000000683C: D3E100D8 0763296C
	v_perm_b32 v52, v16, v76, v15                              // 000000006844: D1ED0034 043E9910
	v_mov_b32_dpp v16, v77 quad_perm:[1,0,3,2] row_mask:0xf bank_mask:0xf// 00000000684C: 7E2002FA FF00B14D
	v_perm_b32 v53, v16, v77, v15                              // 000000006854: D1ED0035 043E9B10
	v_mfma_f32_16x16x16_bf16 v[220:223], v[110:111], v[148:149], v[220:223]// 00000000685C: D3E100DC 0773296E
	ds_write_b32 v18, v51 offset:20256                         // 000000006864: D81A4F20 00003312
	v_mfma_f32_16x16x16_bf16 v[224:227], v[112:113], v[148:149], v[224:227]// 00000000686C: D3E100E0 07832970
	v_mfma_f32_16x16x16_bf16 v[228:231], v[114:115], v[148:149], v[228:231]// 000000006874: D3E100E4 07932972
	ds_write_b32 v18, v52 offset:22016                         // 00000000687C: D81A5600 00003412
	ds_write_b32 v18, v53 offset:22560                         // 000000006884: D81A5820 00003512
	v_mfma_f32_16x16x16_bf16 v[232:235], v[116:117], v[148:149], v[232:235]// 00000000688C: D3E100E8 07A32974
	v_mfma_f32_16x16x16_bf16 v[236:239], v[118:119], v[148:149], v[236:239]// 000000006894: D3E100EC 07B32976
	ds_write_b32 v13, v84 offset:4352                          // 00000000689C: D81A1100 0000540D
	ds_write_b32 v13, v85 offset:5408                          // 0000000068A4: D81A1520 0000550D
	v_mfma_f32_16x16x16_bf16 v[240:243], v[120:121], v[148:149], v[240:243]// 0000000068AC: D3E100F0 07C32978
	s_nop 0                                                    // 0000000068B4: BF800000
	s_nop 0                                                    // 0000000068B8: BF800000
	s_nop 0                                                    // 0000000068BC: BF800000
	v_mfma_f32_16x16x16_bf16 v[244:247], v[122:123], v[148:149], v[244:247]// 0000000068C0: D3E100F4 07D3297A
	ds_write_b32 v13, v86 offset:4480                          // 0000000068C8: D81A1180 0000560D
	ds_write_b32 v13, v87 offset:5536                          // 0000000068D0: D81A15A0 0000570D
	s_barrier                                                  // 0000000068D8: BF8A0000
	v_mfma_f32_16x16x16_bf16 a[160:163], a[144:145], v[72:73], a[160:163]// 0000000068DC: D3E180A0 0E829190
	buffer_atomic_add_f32 v136, v7, s[32:35], 0 offen          // 0000000068E4: E1341000 80088807
	v_mfma_f32_16x16x16_bf16 a[164:167], a[146:147], v[72:73], a[164:167]// 0000000068EC: D3E180A4 0E929192
	ds_read_b32 v124, v21 offset:51200                         // 0000000068F4: D86CC800 7C000015
	ds_read_b32 v150, v21 offset:51456                         // 0000000068FC: D86CC900 96000015
	v_mfma_f32_16x16x16_bf16 a[168:171], a[148:149], v[72:73], a[168:171]// 000000006904: D3E180A8 0EA29194
	s_waitcnt lgkmcnt(6)                                       // 00000000690C: BF8CC67F
	s_barrier                                                  // 000000006910: BF8A0000
	v_mfma_f32_16x16x16_bf16 a[172:175], a[150:151], v[72:73], a[172:175]// 000000006914: D3E180AC 0EB29196
	ds_read_b128 v[48:51], v17 offset:17408                    // 00000000691C: D9FE4400 30000011
	v_mfma_f32_16x16x16_bf16 a[176:179], a[152:153], v[72:73], a[176:179]// 000000006924: D3E180B0 0EC29198
	v_mfma_f32_16x16x16_bf16 a[180:183], a[154:155], v[72:73], a[180:183]// 00000000692C: D3E180B4 0ED2919A
	ds_read_b128 v[52:55], v17 offset:18560                    // 000000006934: D9FE4880 34000011
	v_mfma_f32_16x16x16_bf16 a[184:187], a[156:157], v[72:73], a[184:187]// 00000000693C: D3E180B8 0EE2919C
	buffer_atomic_add_f32 v137, v8, s[32:35], 0 offen          // 000000006944: E1341000 80088908
	v_mfma_f32_16x16x16_bf16 a[188:191], a[158:159], v[72:73], a[188:191]// 00000000694C: D3E180BC 0EF2919E
	ds_read_b128 v[56:59], v17 offset:19712                    // 000000006954: D9FE4D00 38000011
	v_mfma_f32_16x16x16_bf16 a[192:195], a[144:145], v[74:75], a[192:195]// 00000000695C: D3E180C0 0F029590
	v_mfma_f32_16x16x16_bf16 a[196:199], a[146:147], v[74:75], a[196:199]// 000000006964: D3E180C4 0F129592
	ds_read_b128 v[60:63], v17 offset:20864                    // 00000000696C: D9FE5180 3C000011
	v_mfma_f32_16x16x16_bf16 a[200:203], a[148:149], v[74:75], a[200:203]// 000000006974: D3E180C8 0F229594
	v_mfma_f32_16x16x16_bf16 a[204:207], a[150:151], v[74:75], a[204:207]// 00000000697C: D3E180CC 0F329596
	ds_read_b128 v[64:67], v17 offset:22016                    // 000000006984: D9FE5600 40000011
	v_mfma_f32_16x16x16_bf16 a[208:211], a[152:153], v[74:75], a[208:211]// 00000000698C: D3E180D0 0F429598
	buffer_atomic_add_f32 v138, v7, s[32:35], 0 offen offset:128// 000000006994: E1341080 80088A07
	v_mfma_f32_16x16x16_bf16 a[212:215], a[154:155], v[74:75], a[212:215]// 00000000699C: D3E180D4 0F52959A
	ds_read_b128 v[68:71], v17 offset:23168                    // 0000000069A4: D9FE5A80 44000011
	v_mfma_f32_16x16x16_bf16 a[216:219], a[156:157], v[74:75], a[216:219]// 0000000069AC: D3E180D8 0F62959C
	v_mfma_f32_16x16x16_bf16 a[220:223], a[158:159], v[74:75], a[220:223]// 0000000069B4: D3E180DC 0F72959E
	ds_write_b32 v13, v88 offset:13056                         // 0000000069BC: D81A3300 0000580D
	v_mfma_f32_16x16x16_bf16 a[224:227], a[144:145], v[76:77], a[224:227]// 0000000069C4: D3E180E0 0F829990
	v_mfma_f32_16x16x16_bf16 a[228:231], a[146:147], v[76:77], a[228:231]// 0000000069CC: D3E180E4 0F929992
	ds_write_b32 v13, v89 offset:14112                         // 0000000069D4: D81A3720 0000590D
	v_mfma_f32_16x16x16_bf16 a[232:235], a[148:149], v[76:77], a[232:235]// 0000000069DC: D3E180E8 0FA29994
	buffer_atomic_add_f32 v139, v8, s[32:35], 0 offen offset:128// 0000000069E4: E1341080 80088B08
	v_mfma_f32_16x16x16_bf16 a[236:239], a[150:151], v[76:77], a[236:239]// 0000000069EC: D3E180EC 0FB29996
	ds_write_b32 v13, v90 offset:13184                         // 0000000069F4: D81A3380 00005A0D
	v_mfma_f32_16x16x16_bf16 a[240:243], a[152:153], v[76:77], a[240:243]// 0000000069FC: D3E180F0 0FC29998
	v_mfma_f32_16x16x16_bf16 a[244:247], a[154:155], v[76:77], a[244:247]// 000000006A04: D3E180F4 0FD2999A
	ds_write_b32 v13, v91 offset:14240                         // 000000006A0C: D81A37A0 00005B0D
	v_mfma_f32_16x16x16_bf16 a[248:251], a[156:157], v[76:77], a[248:251]// 000000006A14: D3E180F8 0FE2999C
	v_mfma_f32_16x16x16_bf16 a[252:255], a[158:159], v[76:77], a[252:255]// 000000006A1C: D3E180FC 0FF2999E
	s_waitcnt vmcnt(8) lgkmcnt(4)                              // 000000006A24: BF8C0478
	s_barrier                                                  // 000000006A28: BF8A0000
	v_mfma_f32_16x16x16_bf16 v[128:131], v[48:49], a[48:49], 0 // 000000006A2C: D3E10080 12026130
	v_mul_f32_e32 v124, s48, v124                              // 000000006A34: 0AF8F830
	s_nop 0                                                    // 000000006A38: BF800000
	v_mfma_f32_16x16x16_bf16 v[128:131], v[50:51], a[52:53], v[128:131]// 000000006A3C: D3E10080 16026932
	ds_read_b128 a[144:147], v10                               // 000000006A44: DBFE0000 9000000A
	buffer_load_dword v36, v1, s[8:11], 0 idxen                // 000000006A4C: E0502000 80022401
	v_mfma_f32_16x16x16_bf16 v[128:131], v[52:53], a[56:57], v[128:131]// 000000006A54: D3E10080 16027134
	v_mfma_f32_16x16x16_bf16 v[128:131], v[54:55], a[60:61], v[128:131]// 000000006A5C: D3E10080 16027936
	ds_read_b128 a[148:151], v10 offset:512                    // 000000006A64: DBFE0200 9400000A
	buffer_load_dword v37, v2, s[8:11], 0 idxen                // 000000006A6C: E0502000 80022502
	v_mfma_f32_16x16x16_bf16 v[128:131], v[56:57], a[64:65], v[128:131]// 000000006A74: D3E10080 16028138
	v_perm_b32 v84, v33, v32, s63                              // 000000006A7C: D1ED0054 00FE4121
	v_perm_b32 v85, v33, v32, s64                              // 000000006A84: D1ED0055 01024121
	v_mfma_f32_16x16x16_bf16 v[128:131], v[58:59], a[68:69], v[128:131]// 000000006A8C: D3E10080 1602893A
	ds_read_b128 a[152:155], v10 offset:2176                   // 000000006A94: DBFE0880 9800000A
	buffer_load_dword v38, v3, s[8:11], 0 idxen                // 000000006A9C: E0502000 80022603
	v_mfma_f32_16x16x16_bf16 v[128:131], v[60:61], a[72:73], v[128:131]// 000000006AA4: D3E10080 1602913C
	v_perm_b32 v86, v35, v34, s63                              // 000000006AAC: D1ED0056 00FE4523
	v_perm_b32 v87, v35, v34, s64                              // 000000006AB4: D1ED0057 01024523
	v_mfma_f32_16x16x16_bf16 v[128:131], v[62:63], a[76:77], v[128:131]// 000000006ABC: D3E10080 1602993E
	ds_read_b128 a[156:159], v10 offset:2688                   // 000000006AC4: DBFE0A80 9C00000A
	buffer_load_dword v39, v4, s[8:11], 0 idxen                // 000000006ACC: E0502000 80022704
	v_mfma_f32_16x16x16_bf16 v[128:131], v[64:65], a[80:81], v[128:131]// 000000006AD4: D3E10080 1602A140
	v_perm_b32 v88, v41, v40, s63                              // 000000006ADC: D1ED0058 00FE5129
	v_perm_b32 v89, v41, v40, s64                              // 000000006AE4: D1ED0059 01025129
	v_mfma_f32_16x16x16_bf16 v[128:131], v[66:67], a[84:85], v[128:131]// 000000006AEC: D3E10080 1602A942
	ds_read_b128 v[92:95], v10 offset:8704                     // 000000006AF4: D9FE2200 5C00000A
	buffer_load_dword v44, v252, s[20:23], 0 idxen             // 000000006AFC: E0502000 80052CFC
	v_mfma_f32_16x16x16_bf16 v[128:131], v[68:69], a[88:89], v[128:131]// 000000006B04: D3E10080 1602B144
	v_perm_b32 v90, v43, v42, s63                              // 000000006B0C: D1ED005A 00FE552B
	v_perm_b32 v91, v43, v42, s64                              // 000000006B14: D1ED005B 0102552B
	v_mfma_f32_16x16x16_bf16 v[128:131], v[70:71], a[92:93], v[128:131]// 000000006B1C: D3E10080 1602B946
	ds_read_b128 v[96:99], v10 offset:9216                     // 000000006B24: D9FE2400 6000000A
	buffer_load_dword v45, v253, s[20:23], 0 idxen             // 000000006B2C: E0502000 80052DFD
	v_mfma_f32_16x16x16_bf16 v[132:135], v[48:49], a[50:51], 0 // 000000006B34: D3E10084 12026530
	v_mov_b32_dpp v127, v124 quad_perm:[3,3,3,3] row_mask:0xf bank_mask:0xf// 000000006B3C: 7EFE02FA FF00FF7C
	v_mov_b32_dpp v126, v124 quad_perm:[2,2,2,2] row_mask:0xf bank_mask:0xf// 000000006B44: 7EFC02FA FF00AA7C
	v_mfma_f32_16x16x16_bf16 v[132:135], v[50:51], a[54:55], v[132:135]// 000000006B4C: D3E10084 16126D32
	ds_read_b128 v[100:103], v10 offset:10880                  // 000000006B54: D9FE2A80 6400000A
	buffer_load_dword v46, v254, s[20:23], 0 idxen             // 000000006B5C: E0502000 80052EFE
	v_mfma_f32_16x16x16_bf16 v[132:135], v[52:53], a[58:59], v[132:135]// 000000006B64: D3E10084 16127534
	v_mov_b32_dpp v125, v124 quad_perm:[1,1,1,1] row_mask:0xf bank_mask:0xf// 000000006B6C: 7EFA02FA FF00557C
	v_mov_b32_dpp v124, v124 quad_perm:[0,0,0,0] row_mask:0xf bank_mask:0xf// 000000006B74: 7EF802FA FF00007C
	s_add_u32 s60, 64, s59                                     // 000000006B7C: 803C3BC0
	v_mfma_f32_16x16x16_bf16 v[132:135], v[54:55], a[62:63], v[132:135]// 000000006B80: D3E10084 16127D36
	ds_read_b128 v[104:107], v10 offset:11392                  // 000000006B88: D9FE2C80 6800000A
	buffer_load_dword v47, v255, s[20:23], 0 idxen             // 000000006B90: E0502000 80052FFF
	v_mfma_f32_16x16x16_bf16 v[132:135], v[56:57], a[66:67], v[132:135]// 000000006B98: D3E10084 16128538
	s_cmp_lt_u32 s60, s58                                      // 000000006BA0: BF0A3A3C
	s_cselect_b32 s68, s68, 0                                  // 000000006BA4: 85448044
	s_cselect_b32 s100, s100, 0                                // 000000006BA8: 85648064
	s_cselect_b32 s69, s69, 0                                  // 000000006BAC: 85458045
	v_mfma_f32_16x16x16_bf16 v[132:135], v[58:59], a[70:71], v[132:135]// 000000006BB0: D3E10084 16128D3A
	buffer_load_dword v9, s[24:27], 0 idxen lds                // 000000006BB8: E0512000 80060009
	v_mfma_f32_16x16x16_bf16 v[132:135], v[60:61], a[74:75], v[132:135]// 000000006BC0: D3E10084 1612953C
	v_add_u32_e32 v1, s68, v1                                  // 000000006BC8: 68020244
	v_add_u32_e32 v2, s68, v2                                  // 000000006BCC: 68040444
	v_add_u32_e32 v3, s68, v3                                  // 000000006BD0: 68060644
	v_add_u32_e32 v4, s68, v4                                  // 000000006BD4: 68080844
	v_mfma_f32_16x16x16_bf16 v[132:135], v[62:63], a[78:79], v[132:135]// 000000006BD8: D3E10084 16129D3E
	v_add_u32_e32 v252, s100, v252                             // 000000006BE0: 69F9F864
	v_add_u32_e32 v253, s100, v253                             // 000000006BE4: 69FBFA64
	v_add_u32_e32 v254, s100, v254                             // 000000006BE8: 69FDFC64
	v_add_u32_e32 v255, s100, v255                             // 000000006BEC: 69FFFE64
	v_mfma_f32_16x16x16_bf16 v[132:135], v[64:65], a[82:83], v[132:135]// 000000006BF0: D3E10084 1612A540
	s_mov_b32 m0, s80                                          // 000000006BF8: BEFC0050
	v_add_u32_e32 v9, s69, v9                                  // 000000006BFC: 68121245
	v_mfma_f32_16x16x16_bf16 v[132:135], v[66:67], a[86:87], v[132:135]// 000000006C00: D3E10084 1612AD42
	s_cmp_ge_u32 s59, s73                                      // 000000006C08: BF09493B
	s_cselect_b32 s66, s67, s66                                // 000000006C0C: 85424243
	v_mfma_f32_16x16x16_bf16 v[132:135], v[68:69], a[90:91], v[132:135]// 000000006C10: D3E10084 1612B544
	s_addk_i32 s59, 0x10                                       // 000000006C18: B73B0010
	s_nop 0                                                    // 000000006C1C: BF800000
	s_cmp_lt_i32 s59, s58                                      // 000000006C20: BF043A3B
	v_mfma_f32_16x16x16_bf16 v[132:135], v[70:71], a[94:95], v[132:135]// 000000006C24: D3E10084 1612BD46
	s_cbranch_scc0 label_0E9C                                  // 000000006C2C: BF840306
	s_waitcnt lgkmcnt(0)                                       // 000000006C30: BF8CC07F
	s_barrier                                                  // 000000006C34: BF8A0000
	v_mfma_f32_16x16x16_bf16 v[48:51], a[144:145], a[0:1], 0   // 000000006C38: D3E10030 1A020190
	ds_write_b32 v11, v40 offset:8704                          // 000000006C40: D81A2200 0000280B
	ds_write_b32 v11, v41 offset:9760                          // 000000006C48: D81A2620 0000290B
	v_mfma_f32_16x16x16_bf16 v[48:51], a[146:147], a[2:3], v[48:51]// 000000006C50: D3E10030 1CC20592
	v_mul_f32_e32 v128, s47, v128                              // 000000006C58: 0B01002F
	v_mul_f32_e32 v129, s47, v129                              // 000000006C5C: 0B03022F
	v_mfma_f32_16x16x16_bf16 v[48:51], a[148:149], a[4:5], v[48:51]// 000000006C60: D3E10030 1CC20994
	ds_write_b32 v11, v42 offset:8832                          // 000000006C68: D81A2280 00002A0B
	ds_write_b32 v11, v43 offset:9888                          // 000000006C70: D81A26A0 00002B0B
	v_mfma_f32_16x16x16_bf16 v[48:51], a[150:151], a[6:7], v[48:51]// 000000006C78: D3E10030 1CC20D96
	v_mul_f32_e32 v130, s47, v130                              // 000000006C80: 0B05042F
	v_mul_f32_e32 v131, s47, v131                              // 000000006C84: 0B07062F
	v_mfma_f32_16x16x16_bf16 v[48:51], a[152:153], a[8:9], v[48:51]// 000000006C88: D3E10030 1CC21198
	ds_write_b64 v20, v[128:129] offset:24320                  // 000000006C90: D89A5F00 00008014
	v_mfma_f32_16x16x16_bf16 v[48:51], a[154:155], a[10:11], v[48:51]// 000000006C98: D3E10030 1CC2159A
	v_mul_f32_e32 v132, s47, v132                              // 000000006CA0: 0B09082F
	v_mul_f32_e32 v133, s47, v133                              // 000000006CA4: 0B0B0A2F
	v_mfma_f32_16x16x16_bf16 v[48:51], a[156:157], a[12:13], v[48:51]// 000000006CA8: D3E10030 1CC2199C
	ds_write_b64 v20, v[130:131] offset:24832                  // 000000006CB0: D89A6100 00008214
	v_mfma_f32_16x16x16_bf16 v[48:51], a[158:159], a[14:15], v[48:51]// 000000006CB8: D3E10030 1CC21D9E
	v_mul_f32_e32 v134, s47, v134                              // 000000006CC0: 0B0D0C2F
	v_mul_f32_e32 v135, s47, v135                              // 000000006CC4: 0B0F0E2F
	v_mfma_f32_16x16x16_bf16 v[52:55], a[144:145], a[16:17], 0 // 000000006CC8: D3E10034 1A022190
	ds_write_b64 v20, v[132:133] offset:25344                  // 000000006CD0: D89A6300 00008414
	v_mfma_f32_16x16x16_bf16 v[52:55], a[146:147], a[18:19], v[52:55]// 000000006CD8: D3E10034 1CD22592
	buffer_atomic_add_f32 v140, v7, s[32:35], 0 offen offset:256// 000000006CE0: E1341100 80088C07
	v_mfma_f32_16x16x16_bf16 v[52:55], a[148:149], a[20:21], v[52:55]// 000000006CE8: D3E10034 1CD22994
	ds_write_b64 v20, v[134:135] offset:25856                  // 000000006CF0: D89A6500 00008614
	v_mfma_f32_16x16x16_bf16 v[52:55], a[150:151], a[22:23], v[52:55]// 000000006CF8: D3E10034 1CD22D96
	v_mfma_f32_16x16x16_bf16 v[52:55], a[152:153], a[24:25], v[52:55]// 000000006D00: D3E10034 1CD23198
	ds_read_b128 v[108:111], v12 offset:13056                  // 000000006D08: D9FE3300 6C00000C
	ds_write_b32 v11, v32                                      // 000000006D10: D81A0000 0000200B
	v_mfma_f32_16x16x16_bf16 v[52:55], a[154:155], a[26:27], v[52:55]// 000000006D18: D3E10034 1CD2359A
	buffer_atomic_add_f32 v141, v8, s[32:35], 0 offen offset:256// 000000006D20: E1341100 80088D08
	v_mfma_f32_16x16x16_bf16 v[52:55], a[156:157], a[28:29], v[52:55]// 000000006D28: D3E10034 1CD2399C
	v_mfma_f32_16x16x16_bf16 v[52:55], a[158:159], a[30:31], v[52:55]// 000000006D30: D3E10034 1CD23D9E
	ds_read_b128 v[112:115], v12 offset:13568                  // 000000006D38: D9FE3500 7000000C
	ds_write_b32 v11, v33 offset:1056                          // 000000006D40: D81A0420 0000210B
	v_mfma_f32_16x16x16_bf16 v[56:59], a[144:145], a[32:33], 0 // 000000006D48: D3E10038 1A024190
	buffer_atomic_add_f32 v142, v7, s[32:35], 0 offen offset:384// 000000006D50: E1341180 80088E07
	v_mfma_f32_16x16x16_bf16 v[56:59], a[146:147], a[34:35], v[56:59]// 000000006D58: D3E10038 1CE24592
	v_mfma_f32_16x16x16_bf16 v[56:59], a[148:149], a[36:37], v[56:59]// 000000006D60: D3E10038 1CE24994
	ds_read_b128 v[116:119], v12 offset:15232                  // 000000006D68: D9FE3B80 7400000C
	ds_write_b32 v11, v34 offset:128                           // 000000006D70: D81A0080 0000220B
	v_mfma_f32_16x16x16_bf16 v[56:59], a[150:151], a[38:39], v[56:59]// 000000006D78: D3E10038 1CE24D96
	v_mfma_f32_16x16x16_bf16 v[56:59], a[152:153], a[40:41], v[56:59]// 000000006D80: D3E10038 1CE25198
	buffer_atomic_add_f32 v143, v8, s[32:35], 0 offen offset:384// 000000006D88: E1341180 80088F08
	v_mfma_f32_16x16x16_bf16 v[56:59], a[154:155], a[42:43], v[56:59]// 000000006D90: D3E10038 1CE2559A
	ds_read_b128 v[120:123], v12 offset:15744                  // 000000006D98: D9FE3D80 7800000C
	ds_write_b32 v11, v35 offset:1184                          // 000000006DA0: D81A04A0 0000230B
	v_mfma_f32_16x16x16_bf16 v[56:59], a[156:157], a[44:45], v[56:59]// 000000006DA8: D3E10038 1CE2599C
	v_mfma_f32_16x16x16_bf16 v[56:59], a[158:159], a[46:47], v[56:59]// 000000006DB0: D3E10038 1CE25D9E
	s_cmp_lt_i32 s74, 12                                       // 000000006DB8: BF048C4A
	s_cbranch_scc0 label_0C6A                                  // 000000006DBC: BF840075
	s_mov_b32 s60, 0xffe0fffe                                  // 000000006DC0: BEBC00FF FFE0FFFE
	s_mov_b32 s61, 0xe000fe00                                  // 000000006DC8: BEBD00FF E000FE00
	s_nop 0                                                    // 000000006DD0: BF800000
	s_add_u32 s62, 0, s46                                      // 000000006DD4: 803E2E80
	s_cmp_lt_i32 s74, s62                                      // 000000006DD8: BF043E4A
	s_cbranch_scc1 label_0C25                                  // 000000006DDC: BF850028
	s_cmp_eq_i32 s74, s62                                      // 000000006DE0: BF003E4A
	s_cbranch_scc1 label_0C0A                                  // 000000006DE4: BF85000B
	s_add_u32 s62, 4, s46                                      // 000000006DE8: 803E2E84
	s_cmp_lt_i32 s74, s62                                      // 000000006DEC: BF043E4A
	s_cbranch_scc1 label_0C45                                  // 000000006DF0: BF850043
	s_cmp_eq_i32 s74, s62                                      // 000000006DF4: BF003E4A
	s_cbranch_scc1 label_0C2A                                  // 000000006DF8: BF850026
	s_add_u32 s62, 8, s46                                      // 000000006DFC: 803E2E88
	s_cmp_lt_i32 s74, s62                                      // 000000006E00: BF043E4A
	s_cbranch_scc1 label_0C65                                  // 000000006E04: BF85005E
	s_cmp_eq_i32 s74, s62                                      // 000000006E08: BF003E4A
	s_cbranch_scc1 label_0C4A                                  // 000000006E0C: BF850041
	s_branch label_0C6A                                        // 000000006E10: BF820060

0000000000006e14 <label_0C0A>:
	v_cndmask_b32_e64 v48, v48, v151, s[60:61]                 // 000000006E14: D1000030 00F32F30
	s_lshl_b32 s60, s60, 1                                     // 000000006E1C: 8E3C813C
	s_lshl_b32 s61, s61, 1                                     // 000000006E20: 8E3D813D
	s_and_b32 s60, 0xfffeffff, s60                             // 000000006E24: 863C3CFF FFFEFFFF
	s_and_b32 s61, 0xfffeffff, s61                             // 000000006E2C: 863D3DFF FFFEFFFF
	v_cndmask_b32_e64 v49, v49, v151, s[60:61]                 // 000000006E34: D1000031 00F32F31
	s_lshl_b32 s60, s60, 1                                     // 000000006E3C: 8E3C813C
	s_lshl_b32 s61, s61, 1                                     // 000000006E40: 8E3D813D
	s_and_b32 s60, 0xfffeffff, s60                             // 000000006E44: 863C3CFF FFFEFFFF
	s_and_b32 s61, 0xfffeffff, s61                             // 000000006E4C: 863D3DFF FFFEFFFF
	v_cndmask_b32_e64 v50, v50, v151, s[60:61]                 // 000000006E54: D1000032 00F32F32
	s_lshl_b32 s60, s60, 1                                     // 000000006E5C: 8E3C813C
	s_lshl_b32 s61, s61, 1                                     // 000000006E60: 8E3D813D
	s_and_b32 s60, 0xfffeffff, s60                             // 000000006E64: 863C3CFF FFFEFFFF
	s_and_b32 s61, 0xfffeffff, s61                             // 000000006E6C: 863D3DFF FFFEFFFF
	v_cndmask_b32_e64 v51, v51, v151, s[60:61]                 // 000000006E74: D1000033 00F32F33
	s_branch label_0C45                                        // 000000006E7C: BF820020

0000000000006e80 <label_0C25>:
	v_mov_b32_e32 v48, v151                                    // 000000006E80: 7E600397
	v_mov_b32_e32 v49, v151                                    // 000000006E84: 7E620397
	v_mov_b32_e32 v50, v151                                    // 000000006E88: 7E640397
	v_mov_b32_e32 v51, v151                                    // 000000006E8C: 7E660397
	s_branch label_0C45                                        // 000000006E90: BF82001B

0000000000006e94 <label_0C2A>:
	v_cndmask_b32_e64 v52, v52, v151, s[60:61]                 // 000000006E94: D1000034 00F32F34
	s_lshl_b32 s60, s60, 1                                     // 000000006E9C: 8E3C813C
	s_lshl_b32 s61, s61, 1                                     // 000000006EA0: 8E3D813D
	s_and_b32 s60, 0xfffeffff, s60                             // 000000006EA4: 863C3CFF FFFEFFFF
	s_and_b32 s61, 0xfffeffff, s61                             // 000000006EAC: 863D3DFF FFFEFFFF
	v_cndmask_b32_e64 v53, v53, v151, s[60:61]                 // 000000006EB4: D1000035 00F32F35
	s_lshl_b32 s60, s60, 1                                     // 000000006EBC: 8E3C813C
	s_lshl_b32 s61, s61, 1                                     // 000000006EC0: 8E3D813D
	s_and_b32 s60, 0xfffeffff, s60                             // 000000006EC4: 863C3CFF FFFEFFFF
	s_and_b32 s61, 0xfffeffff, s61                             // 000000006ECC: 863D3DFF FFFEFFFF
	v_cndmask_b32_e64 v54, v54, v151, s[60:61]                 // 000000006ED4: D1000036 00F32F36
	s_lshl_b32 s60, s60, 1                                     // 000000006EDC: 8E3C813C
	s_lshl_b32 s61, s61, 1                                     // 000000006EE0: 8E3D813D
	s_and_b32 s60, 0xfffeffff, s60                             // 000000006EE4: 863C3CFF FFFEFFFF
	s_and_b32 s61, 0xfffeffff, s61                             // 000000006EEC: 863D3DFF FFFEFFFF
	v_cndmask_b32_e64 v55, v55, v151, s[60:61]                 // 000000006EF4: D1000037 00F32F37
	s_branch label_0C65                                        // 000000006EFC: BF820020

0000000000006f00 <label_0C45>:
	v_mov_b32_e32 v52, v151                                    // 000000006F00: 7E680397
	v_mov_b32_e32 v53, v151                                    // 000000006F04: 7E6A0397
	v_mov_b32_e32 v54, v151                                    // 000000006F08: 7E6C0397
	v_mov_b32_e32 v55, v151                                    // 000000006F0C: 7E6E0397
	s_branch label_0C65                                        // 000000006F10: BF82001B

0000000000006f14 <label_0C4A>:
	v_cndmask_b32_e64 v56, v56, v151, s[60:61]                 // 000000006F14: D1000038 00F32F38
	s_lshl_b32 s60, s60, 1                                     // 000000006F1C: 8E3C813C
	s_lshl_b32 s61, s61, 1                                     // 000000006F20: 8E3D813D
	s_and_b32 s60, 0xfffeffff, s60                             // 000000006F24: 863C3CFF FFFEFFFF
	s_and_b32 s61, 0xfffeffff, s61                             // 000000006F2C: 863D3DFF FFFEFFFF
	v_cndmask_b32_e64 v57, v57, v151, s[60:61]                 // 000000006F34: D1000039 00F32F39
	s_lshl_b32 s60, s60, 1                                     // 000000006F3C: 8E3C813C
	s_lshl_b32 s61, s61, 1                                     // 000000006F40: 8E3D813D
	s_and_b32 s60, 0xfffeffff, s60                             // 000000006F44: 863C3CFF FFFEFFFF
	s_and_b32 s61, 0xfffeffff, s61                             // 000000006F4C: 863D3DFF FFFEFFFF
	v_cndmask_b32_e64 v58, v58, v151, s[60:61]                 // 000000006F54: D100003A 00F32F3A
	s_lshl_b32 s60, s60, 1                                     // 000000006F5C: 8E3C813C
	s_lshl_b32 s61, s61, 1                                     // 000000006F60: 8E3D813D
	s_and_b32 s60, 0xfffeffff, s60                             // 000000006F64: 863C3CFF FFFEFFFF
	s_and_b32 s61, 0xfffeffff, s61                             // 000000006F6C: 863D3DFF FFFEFFFF
	v_cndmask_b32_e64 v59, v59, v151, s[60:61]                 // 000000006F74: D100003B 00F32F3B
	s_branch label_0C6A                                        // 000000006F7C: BF820005

0000000000006f80 <label_0C65>:
	v_mov_b32_e32 v56, v151                                    // 000000006F80: 7E700397
	v_mov_b32_e32 v57, v151                                    // 000000006F84: 7E720397
	v_mov_b32_e32 v58, v151                                    // 000000006F88: 7E740397
	v_mov_b32_e32 v59, v151                                    // 000000006F8C: 7E760397
	s_branch label_0C6A                                        // 000000006F90: BF820000

0000000000006f94 <label_0C6A>:
	s_cmp_lt_i32 s84, 0xc0                                     // 000000006F94: BF04FF54 000000C0
	s_cbranch_scc0 label_0CBF                                  // 000000006F9C: BF84004D
	s_cmp_le_i32 s84, 64                                       // 000000006FA0: BF05C054
	s_cbranch_scc1 label_0C76                                  // 000000006FA4: BF850007
	s_cmp_le_i32 s84, 0x80                                     // 000000006FA8: BF05FF54 00000080
	s_cbranch_scc1 label_0C8E                                  // 000000006FB0: BF850017
	s_cmp_lt_i32 s84, 0xc0                                     // 000000006FB4: BF04FF54 000000C0
	s_cbranch_scc1 label_0CA6                                  // 000000006FBC: BF85002C
	s_branch label_0CBF                                        // 000000006FC0: BF820044

0000000000006fc4 <label_0C76>:
	s_mov_b32 s60, 0                                           // 000000006FC4: BEBC0080
	v_and_b32_e32 v28, 15, v0                                  // 000000006FC8: 2638008F
	v_add_u32_e64 v28, v28, s60                                // 000000006FCC: D134001C 0000791C
	v_mul_i32_i24_e64 v29, s46, 16                             // 000000006FD4: D106001D 0001202E
	v_add_u32_e32 v28, v28, v29                                // 000000006FDC: 68383B1C
	v_cmp_lt_u32_e64 s[60:61], v28, s84                        // 000000006FE0: D0C9003C 0000A91C
	s_nop 1                                                    // 000000006FE8: BF800001
	v_cndmask_b32_e64 v48, v151, v48, s[60:61]                 // 000000006FEC: D1000030 00F26197
	v_cndmask_b32_e64 v49, v151, v49, s[60:61]                 // 000000006FF4: D1000031 00F26397
	v_cndmask_b32_e64 v50, v151, v50, s[60:61]                 // 000000006FFC: D1000032 00F26597
	v_cndmask_b32_e64 v51, v151, v51, s[60:61]                 // 000000007004: D1000033 00F26797
	s_branch label_0CA1                                        // 00000000700C: BF820013

0000000000007010 <label_0C8E>:
	s_mov_b32 s60, 64                                          // 000000007010: BEBC00C0
	v_and_b32_e32 v28, 15, v0                                  // 000000007014: 2638008F
	v_add_u32_e64 v28, v28, s60                                // 000000007018: D134001C 0000791C
	v_mul_i32_i24_e64 v29, s46, 16                             // 000000007020: D106001D 0001202E
	v_add_u32_e32 v28, v28, v29                                // 000000007028: 68383B1C
	v_cmp_lt_u32_e64 s[60:61], v28, s84                        // 00000000702C: D0C9003C 0000A91C
	s_nop 1                                                    // 000000007034: BF800001
	v_cndmask_b32_e64 v52, v151, v52, s[60:61]                 // 000000007038: D1000034 00F26997
	v_cndmask_b32_e64 v53, v151, v53, s[60:61]                 // 000000007040: D1000035 00F26B97
	v_cndmask_b32_e64 v54, v151, v54, s[60:61]                 // 000000007048: D1000036 00F26D97
	v_cndmask_b32_e64 v55, v151, v55, s[60:61]                 // 000000007050: D1000037 00F26F97
	s_branch label_0CBA                                        // 000000007058: BF820019

000000000000705c <label_0CA1>:
	v_mov_b32_e32 v52, v151                                    // 00000000705C: 7E680397
	v_mov_b32_e32 v53, v151                                    // 000000007060: 7E6A0397
	v_mov_b32_e32 v54, v151                                    // 000000007064: 7E6C0397
	v_mov_b32_e32 v55, v151                                    // 000000007068: 7E6E0397
	s_branch label_0CBA                                        // 00000000706C: BF820014

0000000000007070 <label_0CA6>:
	s_mov_b32 s60, 0x80                                        // 000000007070: BEBC00FF 00000080
	v_and_b32_e32 v28, 15, v0                                  // 000000007078: 2638008F
	v_add_u32_e64 v28, v28, s60                                // 00000000707C: D134001C 0000791C
	v_mul_i32_i24_e64 v29, s46, 16                             // 000000007084: D106001D 0001202E
	v_add_u32_e32 v28, v28, v29                                // 00000000708C: 68383B1C
	v_cmp_lt_u32_e64 s[60:61], v28, s84                        // 000000007090: D0C9003C 0000A91C
	s_nop 1                                                    // 000000007098: BF800001
	v_cndmask_b32_e64 v56, v151, v56, s[60:61]                 // 00000000709C: D1000038 00F27197
	v_cndmask_b32_e64 v57, v151, v57, s[60:61]                 // 0000000070A4: D1000039 00F27397
	v_cndmask_b32_e64 v58, v151, v58, s[60:61]                 // 0000000070AC: D100003A 00F27597
	v_cndmask_b32_e64 v59, v151, v59, s[60:61]                 // 0000000070B4: D100003B 00F27797
	s_branch label_0CBF                                        // 0000000070BC: BF820005

00000000000070c0 <label_0CBA>:
	v_mov_b32_e32 v56, v151                                    // 0000000070C0: 7E700397
	v_mov_b32_e32 v57, v151                                    // 0000000070C4: 7E720397
	v_mov_b32_e32 v58, v151                                    // 0000000070C8: 7E740397
	v_mov_b32_e32 v59, v151                                    // 0000000070CC: 7E760397
	s_branch label_0CBF                                        // 0000000070D0: BF820000

00000000000070d4 <label_0CBF>:
	s_addk_i32 s74, 0x1                                        // 0000000070D4: B74A0001
	s_waitcnt lgkmcnt(8)                                       // 0000000070D8: BF8CC87F
	s_barrier                                                  // 0000000070DC: BF8A0000
	v_mfma_f32_16x16x16_bf16 v[72:75], v[92:93], a[96:97], 0   // 0000000070E0: D3E10048 1202C15C
	ds_read_b128 a[144:147], v12 offset:4352                   // 0000000070E8: DBFE1100 9000000C
	ds_read_b128 a[148:151], v12 offset:4864                   // 0000000070F0: DBFE1300 9400000C
	v_mfma_f32_16x16x16_bf16 v[72:75], v[94:95], a[98:99], v[72:75]// 0000000070F8: D3E10048 1522C55E
	v_fma_f32 v48, v48, s57, -v124                             // 000000007100: D1CB0030 85F07330
	v_fma_f32 v49, v49, s57, -v125                             // 000000007108: D1CB0031 85F47331
	v_fma_f32 v50, v50, s57, -v126                             // 000000007110: D1CB0032 85F87332
	v_mfma_f32_16x16x16_bf16 v[72:75], v[96:97], a[100:101], v[72:75]// 000000007118: D3E10048 1522C960
	v_fma_f32 v51, v51, s57, -v127                             // 000000007120: D1CB0033 85FC7333
	v_fma_f32 v52, v52, s57, -v124                             // 000000007128: D1CB0034 85F07334
	v_fma_f32 v53, v53, s57, -v125                             // 000000007130: D1CB0035 85F47335
	v_mfma_f32_16x16x16_bf16 v[72:75], v[98:99], a[102:103], v[72:75]// 000000007138: D3E10048 1522CD62
	v_fma_f32 v54, v54, s57, -v126                             // 000000007140: D1CB0036 85F87336
	v_fma_f32 v55, v55, s57, -v127                             // 000000007148: D1CB0037 85FC7337
	v_fma_f32 v56, v56, s57, -v124                             // 000000007150: D1CB0038 85F07338
	v_mfma_f32_16x16x16_bf16 v[72:75], v[100:101], a[104:105], v[72:75]// 000000007158: D3E10048 1522D164
	ds_read_b128 a[152:155], v12 offset:6528                   // 000000007160: DBFE1980 9800000C
	ds_read_b128 a[156:159], v12 offset:7040                   // 000000007168: DBFE1B80 9C00000C
	v_mfma_f32_16x16x16_bf16 v[72:75], v[102:103], a[106:107], v[72:75]// 000000007170: D3E10048 1522D566
	v_fma_f32 v57, v57, s57, -v125                             // 000000007178: D1CB0039 85F47339
	v_fma_f32 v58, v58, s57, -v126                             // 000000007180: D1CB003A 85F8733A
	v_fma_f32 v59, v59, s57, -v127                             // 000000007188: D1CB003B 85FC733B
	v_mfma_f32_16x16x16_bf16 v[72:75], v[104:105], a[108:109], v[72:75]// 000000007190: D3E10048 1522D968
	v_exp_f32_e32 v48, v48                                     // 000000007198: 7E604130
	v_mfma_f32_16x16x16_bf16 v[72:75], v[106:107], a[110:111], v[72:75]// 00000000719C: D3E10048 1522DD6A
	v_exp_f32_e32 v49, v49                                     // 0000000071A4: 7E624131
	v_mfma_f32_16x16x16_bf16 v[76:79], v[92:93], a[112:113], 0 // 0000000071A8: D3E1004C 1202E15C
	ds_read_b64 v[136:137], v19 offset:24320                   // 0000000071B0: D8EC5F00 88000013
	ds_read_b64 v[138:139], v19 offset:26368                   // 0000000071B8: D8EC6700 8A000013
	v_mfma_f32_16x16x16_bf16 v[76:79], v[94:95], a[114:115], v[76:79]// 0000000071C0: D3E1004C 1532E55E
	v_exp_f32_e32 v50, v50                                     // 0000000071C8: 7E644132
	v_mfma_f32_16x16x16_bf16 v[76:79], v[96:97], a[116:117], v[76:79]// 0000000071CC: D3E1004C 1532E960
	ds_read_b64 v[140:141], v19 offset:28416                   // 0000000071D4: D8EC6F00 8C000013
	ds_read_b64 v[142:143], v19 offset:30464                   // 0000000071DC: D8EC7700 8E000013
	v_mfma_f32_16x16x16_bf16 v[76:79], v[98:99], a[118:119], v[76:79]// 0000000071E4: D3E1004C 1532ED62
	v_exp_f32_e32 v51, v51                                     // 0000000071EC: 7E664133
	v_mfma_f32_16x16x16_bf16 v[76:79], v[100:101], a[120:121], v[76:79]// 0000000071F0: D3E1004C 1532F164
	v_exp_f32_e32 v52, v52                                     // 0000000071F8: 7E684134
	v_mfma_f32_16x16x16_bf16 v[76:79], v[102:103], a[122:123], v[76:79]// 0000000071FC: D3E1004C 1532F566
	v_exp_f32_e32 v53, v53                                     // 000000007204: 7E6A4135
	v_mfma_f32_16x16x16_bf16 v[76:79], v[104:105], a[124:125], v[76:79]// 000000007208: D3E1004C 1532F968
	v_exp_f32_e32 v54, v54                                     // 000000007210: 7E6C4136
	v_mfma_f32_16x16x16_bf16 v[76:79], v[106:107], a[126:127], v[76:79]// 000000007214: D3E1004C 1532FD6A
	v_exp_f32_e32 v55, v55                                     // 00000000721C: 7E6E4137
	v_mfma_f32_16x16x16_bf16 v[80:83], v[92:93], a[128:129], 0 // 000000007220: D3E10050 1203015C
	v_exp_f32_e32 v56, v56                                     // 000000007228: 7E704138
	v_mfma_f32_16x16x16_bf16 v[80:83], v[94:95], a[130:131], v[80:83]// 00000000722C: D3E10050 1543055E
	v_exp_f32_e32 v57, v57                                     // 000000007234: 7E724139
	v_mfma_f32_16x16x16_bf16 v[80:83], v[96:97], a[132:133], v[80:83]// 000000007238: D3E10050 15430960
	v_exp_f32_e32 v58, v58                                     // 000000007240: 7E74413A
	v_mfma_f32_16x16x16_bf16 v[80:83], v[98:99], a[134:135], v[80:83]// 000000007244: D3E10050 15430D62
	v_exp_f32_e32 v59, v59                                     // 00000000724C: 7E76413B
	v_mfma_f32_16x16x16_bf16 v[80:83], v[100:101], a[136:137], v[80:83]// 000000007250: D3E10050 15431164
	v_perm_b32 v144, v49, v48, s64                             // 000000007258: D1ED0090 01026131
	v_perm_b32 v145, v51, v50, s64                             // 000000007260: D1ED0091 01026533
	v_perm_b32 v146, v53, v52, s64                             // 000000007268: D1ED0092 01026935
	v_mfma_f32_16x16x16_bf16 v[80:83], v[102:103], a[138:139], v[80:83]// 000000007270: D3E10050 15431566
	v_perm_b32 v147, v55, v54, s64                             // 000000007278: D1ED0093 01026D37
	v_perm_b32 v148, v57, v56, s64                             // 000000007280: D1ED0094 01027139
	v_perm_b32 v149, v59, v58, s64                             // 000000007288: D1ED0095 0102753B
	v_mfma_f32_16x16x16_bf16 v[80:83], v[104:105], a[140:141], v[80:83]// 000000007290: D3E10050 15431968
	v_add_u32_e32 v7, s66, v7                                  // 000000007298: 680E0E42
	v_add_u32_e32 v8, s66, v8                                  // 00000000729C: 68101042
	v_mfma_f32_16x16x16_bf16 v[80:83], v[106:107], a[142:143], v[80:83]// 0000000072A0: D3E10050 15431D6A
	s_waitcnt lgkmcnt(0)                                       // 0000000072A8: BF8CC07F
	s_barrier                                                  // 0000000072AC: BF8A0000
	v_mfma_f32_16x16x16_bf16 v[152:155], v[108:109], v[144:145], v[152:155]// 0000000072B0: D3E10098 0663216C
	v_subrev_f32_dpp v72, v150, v72 quad_perm:[0,0,0,0] row_mask:0xf bank_mask:0xf// 0000000072B8: 069090FA FF000096
	v_subrev_f32_dpp v73, v150, v73 quad_perm:[1,1,1,1] row_mask:0xf bank_mask:0xf// 0000000072C0: 069292FA FF005596
	v_subrev_f32_dpp v74, v150, v74 quad_perm:[2,2,2,2] row_mask:0xf bank_mask:0xf// 0000000072C8: 069494FA FF00AA96
	v_mfma_f32_16x16x16_bf16 v[156:159], v[110:111], v[144:145], v[156:159]// 0000000072D0: D3E1009C 0673216E
	v_subrev_f32_dpp v75, v150, v75 quad_perm:[3,3,3,3] row_mask:0xf bank_mask:0xf// 0000000072D8: 069696FA FF00FF96
	v_subrev_f32_dpp v76, v150, v76 quad_perm:[0,0,0,0] row_mask:0xf bank_mask:0xf// 0000000072E0: 069898FA FF000096
	v_subrev_f32_dpp v77, v150, v77 quad_perm:[1,1,1,1] row_mask:0xf bank_mask:0xf// 0000000072E8: 069A9AFA FF005596
	v_mfma_f32_16x16x16_bf16 v[160:163], v[112:113], v[144:145], v[160:163]// 0000000072F0: D3E100A0 06832170
	v_mul_f32_e32 v72, v48, v72                                // 0000000072F8: 0A909130
	v_mul_f32_e32 v73, v49, v73                                // 0000000072FC: 0A929331
	v_mul_f32_e32 v74, v50, v74                                // 000000007300: 0A949532
	v_mfma_f32_16x16x16_bf16 v[164:167], v[114:115], v[144:145], v[164:167]// 000000007304: D3E100A4 06932172
	v_mul_f32_e32 v75, v51, v75                                // 00000000730C: 0A969733
	v_mul_f32_e32 v76, v52, v76                                // 000000007310: 0A989934
	v_mul_f32_e32 v77, v53, v77                                // 000000007314: 0A9A9B35
	v_mfma_f32_16x16x16_bf16 v[168:171], v[116:117], v[144:145], v[168:171]// 000000007318: D3E100A8 06A32174
	v_perm_b32 v72, v73, v72, s64                              // 000000007320: D1ED0048 01029149
	v_perm_b32 v73, v75, v74, s64                              // 000000007328: D1ED0049 0102954B
	v_perm_b32 v74, v77, v76, s64                              // 000000007330: D1ED004A 0102994D
	v_mfma_f32_16x16x16_bf16 v[172:175], v[118:119], v[144:145], v[172:175]// 000000007338: D3E100AC 06B32176
	v_mov_b32_dpp v16, v72 quad_perm:[1,0,3,2] row_mask:0xf bank_mask:0xf// 000000007340: 7E2002FA FF00B148
	v_perm_b32 v48, v16, v72, v15                              // 000000007348: D1ED0030 043E9110
	v_mov_b32_dpp v16, v73 quad_perm:[1,0,3,2] row_mask:0xf bank_mask:0xf// 000000007350: 7E2002FA FF00B149
	v_mfma_f32_16x16x16_bf16 v[176:179], v[120:121], v[144:145], v[176:179]// 000000007358: D3E100B0 06C32178
	v_perm_b32 v49, v16, v73, v15                              // 000000007360: D1ED0031 043E9310
	v_mov_b32_dpp v16, v74 quad_perm:[1,0,3,2] row_mask:0xf bank_mask:0xf// 000000007368: 7E2002FA FF00B14A
	v_perm_b32 v50, v16, v74, v15                              // 000000007370: D1ED0032 043E9510
	v_mfma_f32_16x16x16_bf16 v[180:183], v[122:123], v[144:145], v[180:183]// 000000007378: D3E100B4 06D3217A
	ds_write_b32 v18, v48 offset:17408                         // 000000007380: D81A4400 00003012
	v_mfma_f32_16x16x16_bf16 v[184:187], v[108:109], v[146:147], v[184:187]// 000000007388: D3E100B8 06E3256C
	v_subrev_f32_dpp v78, v150, v78 quad_perm:[2,2,2,2] row_mask:0xf bank_mask:0xf// 000000007390: 069C9CFA FF00AA96
	v_subrev_f32_dpp v79, v150, v79 quad_perm:[3,3,3,3] row_mask:0xf bank_mask:0xf// 000000007398: 069E9EFA FF00FF96
	v_subrev_f32_dpp v80, v150, v80 quad_perm:[0,0,0,0] row_mask:0xf bank_mask:0xf// 0000000073A0: 06A0A0FA FF000096
	v_mfma_f32_16x16x16_bf16 v[188:191], v[110:111], v[146:147], v[188:191]// 0000000073A8: D3E100BC 06F3256E
	ds_write_b32 v18, v49 offset:17952                         // 0000000073B0: D81A4620 00003112
	v_mfma_f32_16x16x16_bf16 v[192:195], v[112:113], v[146:147], v[192:195]// 0000000073B8: D3E100C0 07032570
	v_subrev_f32_dpp v81, v150, v81 quad_perm:[1,1,1,1] row_mask:0xf bank_mask:0xf// 0000000073C0: 06A2A2FA FF005596
	v_subrev_f32_dpp v82, v150, v82 quad_perm:[2,2,2,2] row_mask:0xf bank_mask:0xf// 0000000073C8: 06A4A4FA FF00AA96
	v_subrev_f32_dpp v83, v150, v83 quad_perm:[3,3,3,3] row_mask:0xf bank_mask:0xf// 0000000073D0: 06A6A6FA FF00FF96
	v_mfma_f32_16x16x16_bf16 v[196:199], v[114:115], v[146:147], v[196:199]// 0000000073D8: D3E100C4 07132572
	ds_write_b32 v18, v50 offset:19712                         // 0000000073E0: D81A4D00 00003212
	v_mfma_f32_16x16x16_bf16 v[200:203], v[116:117], v[146:147], v[200:203]// 0000000073E8: D3E100C8 07232574
	v_mul_f32_e32 v78, v54, v78                                // 0000000073F0: 0A9C9D36
	v_mul_f32_e32 v79, v55, v79                                // 0000000073F4: 0A9E9F37
	v_mul_f32_e32 v80, v56, v80                                // 0000000073F8: 0AA0A138
	v_mfma_f32_16x16x16_bf16 v[204:207], v[118:119], v[146:147], v[204:207]// 0000000073FC: D3E100CC 07332576
	v_mul_f32_e32 v81, v57, v81                                // 000000007404: 0AA2A339
	v_mul_f32_e32 v82, v58, v82                                // 000000007408: 0AA4A53A
	v_mul_f32_e32 v83, v59, v83                                // 00000000740C: 0AA6A73B
	v_mfma_f32_16x16x16_bf16 v[208:211], v[120:121], v[146:147], v[208:211]// 000000007410: D3E100D0 07432578
	v_perm_b32 v75, v79, v78, s64                              // 000000007418: D1ED004B 01029D4F
	v_perm_b32 v76, v81, v80, s64                              // 000000007420: D1ED004C 0102A151
	v_perm_b32 v77, v83, v82, s64                              // 000000007428: D1ED004D 0102A553
	v_mfma_f32_16x16x16_bf16 v[212:215], v[122:123], v[146:147], v[212:215]// 000000007430: D3E100D4 0753257A
	v_mov_b32_dpp v16, v75 quad_perm:[1,0,3,2] row_mask:0xf bank_mask:0xf// 000000007438: 7E2002FA FF00B14B
	v_perm_b32 v51, v16, v75, v15                              // 000000007440: D1ED0033 043E9710
	v_mov_b32_dpp v16, v76 quad_perm:[1,0,3,2] row_mask:0xf bank_mask:0xf// 000000007448: 7E2002FA FF00B14C
	v_mfma_f32_16x16x16_bf16 v[216:219], v[108:109], v[148:149], v[216:219]// 000000007450: D3E100D8 0763296C
	v_perm_b32 v52, v16, v76, v15                              // 000000007458: D1ED0034 043E9910
	v_mov_b32_dpp v16, v77 quad_perm:[1,0,3,2] row_mask:0xf bank_mask:0xf// 000000007460: 7E2002FA FF00B14D
	v_perm_b32 v53, v16, v77, v15                              // 000000007468: D1ED0035 043E9B10
	v_mfma_f32_16x16x16_bf16 v[220:223], v[110:111], v[148:149], v[220:223]// 000000007470: D3E100DC 0773296E
	ds_write_b32 v18, v51 offset:20256                         // 000000007478: D81A4F20 00003312
	v_mfma_f32_16x16x16_bf16 v[224:227], v[112:113], v[148:149], v[224:227]// 000000007480: D3E100E0 07832970
	v_mfma_f32_16x16x16_bf16 v[228:231], v[114:115], v[148:149], v[228:231]// 000000007488: D3E100E4 07932972
	ds_write_b32 v18, v52 offset:22016                         // 000000007490: D81A5600 00003412
	ds_write_b32 v18, v53 offset:22560                         // 000000007498: D81A5820 00003512
	v_mfma_f32_16x16x16_bf16 v[232:235], v[116:117], v[148:149], v[232:235]// 0000000074A0: D3E100E8 07A32974
	v_mfma_f32_16x16x16_bf16 v[236:239], v[118:119], v[148:149], v[236:239]// 0000000074A8: D3E100EC 07B32976
	ds_write_b32 v13, v84 offset:4352                          // 0000000074B0: D81A1100 0000540D
	ds_write_b32 v13, v85 offset:5408                          // 0000000074B8: D81A1520 0000550D
	v_mfma_f32_16x16x16_bf16 v[240:243], v[120:121], v[148:149], v[240:243]// 0000000074C0: D3E100F0 07C32978
	s_nop 0                                                    // 0000000074C8: BF800000
	s_nop 0                                                    // 0000000074CC: BF800000
	s_nop 0                                                    // 0000000074D0: BF800000
	v_mfma_f32_16x16x16_bf16 v[244:247], v[122:123], v[148:149], v[244:247]// 0000000074D4: D3E100F4 07D3297A
	ds_write_b32 v13, v86 offset:4480                          // 0000000074DC: D81A1180 0000560D
	ds_write_b32 v13, v87 offset:5536                          // 0000000074E4: D81A15A0 0000570D
	s_barrier                                                  // 0000000074EC: BF8A0000
	v_mfma_f32_16x16x16_bf16 a[160:163], a[144:145], v[72:73], a[160:163]// 0000000074F0: D3E180A0 0E829190
	buffer_atomic_add_f32 v136, v7, s[32:35], 0 offen          // 0000000074F8: E1341000 80088807
	v_mfma_f32_16x16x16_bf16 a[164:167], a[146:147], v[72:73], a[164:167]// 000000007500: D3E180A4 0E929192
	ds_read_b32 v124, v21 offset:50688                         // 000000007508: D86CC600 7C000015
	ds_read_b32 v150, v21 offset:50944                         // 000000007510: D86CC700 96000015
	v_mfma_f32_16x16x16_bf16 a[168:171], a[148:149], v[72:73], a[168:171]// 000000007518: D3E180A8 0EA29194
	s_waitcnt lgkmcnt(6)                                       // 000000007520: BF8CC67F
	s_barrier                                                  // 000000007524: BF8A0000
	v_mfma_f32_16x16x16_bf16 a[172:175], a[150:151], v[72:73], a[172:175]// 000000007528: D3E180AC 0EB29196
	ds_read_b128 v[48:51], v17 offset:17408                    // 000000007530: D9FE4400 30000011
	v_mfma_f32_16x16x16_bf16 a[176:179], a[152:153], v[72:73], a[176:179]// 000000007538: D3E180B0 0EC29198
	v_mfma_f32_16x16x16_bf16 a[180:183], a[154:155], v[72:73], a[180:183]// 000000007540: D3E180B4 0ED2919A
	ds_read_b128 v[52:55], v17 offset:18560                    // 000000007548: D9FE4880 34000011
	v_mfma_f32_16x16x16_bf16 a[184:187], a[156:157], v[72:73], a[184:187]// 000000007550: D3E180B8 0EE2919C
	buffer_atomic_add_f32 v137, v8, s[32:35], 0 offen          // 000000007558: E1341000 80088908
	v_mfma_f32_16x16x16_bf16 a[188:191], a[158:159], v[72:73], a[188:191]// 000000007560: D3E180BC 0EF2919E
	ds_read_b128 v[56:59], v17 offset:19712                    // 000000007568: D9FE4D00 38000011
	v_mfma_f32_16x16x16_bf16 a[192:195], a[144:145], v[74:75], a[192:195]// 000000007570: D3E180C0 0F029590
	v_mfma_f32_16x16x16_bf16 a[196:199], a[146:147], v[74:75], a[196:199]// 000000007578: D3E180C4 0F129592
	ds_read_b128 v[60:63], v17 offset:20864                    // 000000007580: D9FE5180 3C000011
	v_mfma_f32_16x16x16_bf16 a[200:203], a[148:149], v[74:75], a[200:203]// 000000007588: D3E180C8 0F229594
	v_mfma_f32_16x16x16_bf16 a[204:207], a[150:151], v[74:75], a[204:207]// 000000007590: D3E180CC 0F329596
	ds_read_b128 v[64:67], v17 offset:22016                    // 000000007598: D9FE5600 40000011
	v_mfma_f32_16x16x16_bf16 a[208:211], a[152:153], v[74:75], a[208:211]// 0000000075A0: D3E180D0 0F429598
	buffer_atomic_add_f32 v138, v7, s[32:35], 0 offen offset:128// 0000000075A8: E1341080 80088A07
	v_mfma_f32_16x16x16_bf16 a[212:215], a[154:155], v[74:75], a[212:215]// 0000000075B0: D3E180D4 0F52959A
	ds_read_b128 v[68:71], v17 offset:23168                    // 0000000075B8: D9FE5A80 44000011
	v_mfma_f32_16x16x16_bf16 a[216:219], a[156:157], v[74:75], a[216:219]// 0000000075C0: D3E180D8 0F62959C
	v_mfma_f32_16x16x16_bf16 a[220:223], a[158:159], v[74:75], a[220:223]// 0000000075C8: D3E180DC 0F72959E
	ds_write_b32 v13, v88 offset:13056                         // 0000000075D0: D81A3300 0000580D
	v_mfma_f32_16x16x16_bf16 a[224:227], a[144:145], v[76:77], a[224:227]// 0000000075D8: D3E180E0 0F829990
	v_mfma_f32_16x16x16_bf16 a[228:231], a[146:147], v[76:77], a[228:231]// 0000000075E0: D3E180E4 0F929992
	ds_write_b32 v13, v89 offset:14112                         // 0000000075E8: D81A3720 0000590D
	v_mfma_f32_16x16x16_bf16 a[232:235], a[148:149], v[76:77], a[232:235]// 0000000075F0: D3E180E8 0FA29994
	buffer_atomic_add_f32 v139, v8, s[32:35], 0 offen offset:128// 0000000075F8: E1341080 80088B08
	v_mfma_f32_16x16x16_bf16 a[236:239], a[150:151], v[76:77], a[236:239]// 000000007600: D3E180EC 0FB29996
	ds_write_b32 v13, v90 offset:13184                         // 000000007608: D81A3380 00005A0D
	v_mfma_f32_16x16x16_bf16 a[240:243], a[152:153], v[76:77], a[240:243]// 000000007610: D3E180F0 0FC29998
	v_mfma_f32_16x16x16_bf16 a[244:247], a[154:155], v[76:77], a[244:247]// 000000007618: D3E180F4 0FD2999A
	ds_write_b32 v13, v91 offset:14240                         // 000000007620: D81A37A0 00005B0D
	v_mfma_f32_16x16x16_bf16 a[248:251], a[156:157], v[76:77], a[248:251]// 000000007628: D3E180F8 0FE2999C
	v_mfma_f32_16x16x16_bf16 a[252:255], a[158:159], v[76:77], a[252:255]// 000000007630: D3E180FC 0FF2999E
	s_waitcnt vmcnt(8) lgkmcnt(4)                              // 000000007638: BF8C0478
	s_barrier                                                  // 00000000763C: BF8A0000
	v_mfma_f32_16x16x16_bf16 v[128:131], v[48:49], a[48:49], 0 // 000000007640: D3E10080 12026130
	v_mul_f32_e32 v124, s48, v124                              // 000000007648: 0AF8F830
	s_nop 0                                                    // 00000000764C: BF800000
	v_mfma_f32_16x16x16_bf16 v[128:131], v[50:51], a[52:53], v[128:131]// 000000007650: D3E10080 16026932
	ds_read_b128 a[144:147], v10                               // 000000007658: DBFE0000 9000000A
	buffer_load_dword v32, v1, s[8:11], 0 idxen                // 000000007660: E0502000 80022001
	v_mfma_f32_16x16x16_bf16 v[128:131], v[52:53], a[56:57], v[128:131]// 000000007668: D3E10080 16027134
	v_mfma_f32_16x16x16_bf16 v[128:131], v[54:55], a[60:61], v[128:131]// 000000007670: D3E10080 16027936
	ds_read_b128 a[148:151], v10 offset:512                    // 000000007678: DBFE0200 9400000A
	buffer_load_dword v33, v2, s[8:11], 0 idxen                // 000000007680: E0502000 80022102
	v_mfma_f32_16x16x16_bf16 v[128:131], v[56:57], a[64:65], v[128:131]// 000000007688: D3E10080 16028138
	v_perm_b32 v84, v37, v36, s63                              // 000000007690: D1ED0054 00FE4925
	v_perm_b32 v85, v37, v36, s64                              // 000000007698: D1ED0055 01024925
	v_mfma_f32_16x16x16_bf16 v[128:131], v[58:59], a[68:69], v[128:131]// 0000000076A0: D3E10080 1602893A
	ds_read_b128 a[152:155], v10 offset:2176                   // 0000000076A8: DBFE0880 9800000A
	buffer_load_dword v34, v3, s[8:11], 0 idxen                // 0000000076B0: E0502000 80022203
	v_mfma_f32_16x16x16_bf16 v[128:131], v[60:61], a[72:73], v[128:131]// 0000000076B8: D3E10080 1602913C
	v_perm_b32 v86, v39, v38, s63                              // 0000000076C0: D1ED0056 00FE4D27
	v_perm_b32 v87, v39, v38, s64                              // 0000000076C8: D1ED0057 01024D27
	v_mfma_f32_16x16x16_bf16 v[128:131], v[62:63], a[76:77], v[128:131]// 0000000076D0: D3E10080 1602993E
	ds_read_b128 a[156:159], v10 offset:2688                   // 0000000076D8: DBFE0A80 9C00000A
	buffer_load_dword v35, v4, s[8:11], 0 idxen                // 0000000076E0: E0502000 80022304
	v_mfma_f32_16x16x16_bf16 v[128:131], v[64:65], a[80:81], v[128:131]// 0000000076E8: D3E10080 1602A140
	v_perm_b32 v88, v45, v44, s63                              // 0000000076F0: D1ED0058 00FE592D
	v_perm_b32 v89, v45, v44, s64                              // 0000000076F8: D1ED0059 0102592D
	v_mfma_f32_16x16x16_bf16 v[128:131], v[66:67], a[84:85], v[128:131]// 000000007700: D3E10080 1602A942
	ds_read_b128 v[92:95], v10 offset:8704                     // 000000007708: D9FE2200 5C00000A
	buffer_load_dword v40, v252, s[20:23], 0 idxen             // 000000007710: E0502000 800528FC
	v_mfma_f32_16x16x16_bf16 v[128:131], v[68:69], a[88:89], v[128:131]// 000000007718: D3E10080 1602B144
	v_perm_b32 v90, v47, v46, s63                              // 000000007720: D1ED005A 00FE5D2F
	v_perm_b32 v91, v47, v46, s64                              // 000000007728: D1ED005B 01025D2F
	v_mfma_f32_16x16x16_bf16 v[128:131], v[70:71], a[92:93], v[128:131]// 000000007730: D3E10080 1602B946
	ds_read_b128 v[96:99], v10 offset:9216                     // 000000007738: D9FE2400 6000000A
	buffer_load_dword v41, v253, s[20:23], 0 idxen             // 000000007740: E0502000 800529FD
	v_mfma_f32_16x16x16_bf16 v[132:135], v[48:49], a[50:51], 0 // 000000007748: D3E10084 12026530
	v_mov_b32_dpp v127, v124 quad_perm:[3,3,3,3] row_mask:0xf bank_mask:0xf// 000000007750: 7EFE02FA FF00FF7C
	v_mov_b32_dpp v126, v124 quad_perm:[2,2,2,2] row_mask:0xf bank_mask:0xf// 000000007758: 7EFC02FA FF00AA7C
	v_mfma_f32_16x16x16_bf16 v[132:135], v[50:51], a[54:55], v[132:135]// 000000007760: D3E10084 16126D32
	ds_read_b128 v[100:103], v10 offset:10880                  // 000000007768: D9FE2A80 6400000A
	buffer_load_dword v42, v254, s[20:23], 0 idxen             // 000000007770: E0502000 80052AFE
	v_mfma_f32_16x16x16_bf16 v[132:135], v[52:53], a[58:59], v[132:135]// 000000007778: D3E10084 16127534
	v_mov_b32_dpp v125, v124 quad_perm:[1,1,1,1] row_mask:0xf bank_mask:0xf// 000000007780: 7EFA02FA FF00557C
	v_mov_b32_dpp v124, v124 quad_perm:[0,0,0,0] row_mask:0xf bank_mask:0xf// 000000007788: 7EF802FA FF00007C
	s_add_u32 s60, 64, s59                                     // 000000007790: 803C3BC0
	v_mfma_f32_16x16x16_bf16 v[132:135], v[54:55], a[62:63], v[132:135]// 000000007794: D3E10084 16127D36
	ds_read_b128 v[104:107], v10 offset:11392                  // 00000000779C: D9FE2C80 6800000A
	buffer_load_dword v43, v255, s[20:23], 0 idxen             // 0000000077A4: E0502000 80052BFF
	v_mfma_f32_16x16x16_bf16 v[132:135], v[56:57], a[66:67], v[132:135]// 0000000077AC: D3E10084 16128538
	s_cmp_lt_u32 s60, s58                                      // 0000000077B4: BF0A3A3C
	s_cselect_b32 s68, s68, 0                                  // 0000000077B8: 85448044
	s_cselect_b32 s100, s100, 0                                // 0000000077BC: 85648064
	s_cselect_b32 s69, s69, 0                                  // 0000000077C0: 85458045
	v_mfma_f32_16x16x16_bf16 v[132:135], v[58:59], a[70:71], v[132:135]// 0000000077C4: D3E10084 16128D3A
	buffer_load_dword v9, s[24:27], 0 idxen lds                // 0000000077CC: E0512000 80060009
	v_mfma_f32_16x16x16_bf16 v[132:135], v[60:61], a[74:75], v[132:135]// 0000000077D4: D3E10084 1612953C
	v_add_u32_e32 v1, s68, v1                                  // 0000000077DC: 68020244
	v_add_u32_e32 v2, s68, v2                                  // 0000000077E0: 68040444
	v_add_u32_e32 v3, s68, v3                                  // 0000000077E4: 68060644
	v_add_u32_e32 v4, s68, v4                                  // 0000000077E8: 68080844
	v_mfma_f32_16x16x16_bf16 v[132:135], v[62:63], a[78:79], v[132:135]// 0000000077EC: D3E10084 16129D3E
	v_add_u32_e32 v252, s100, v252                             // 0000000077F4: 69F9F864
	v_add_u32_e32 v253, s100, v253                             // 0000000077F8: 69FBFA64
	v_add_u32_e32 v254, s100, v254                             // 0000000077FC: 69FDFC64
	v_add_u32_e32 v255, s100, v255                             // 000000007800: 69FFFE64
	v_mfma_f32_16x16x16_bf16 v[132:135], v[64:65], a[82:83], v[132:135]// 000000007804: D3E10084 1612A540
	s_mov_b32 m0, s81                                          // 00000000780C: BEFC0051
	v_add_u32_e32 v9, s69, v9                                  // 000000007810: 68121245
	v_mfma_f32_16x16x16_bf16 v[132:135], v[66:67], a[86:87], v[132:135]// 000000007814: D3E10084 1612AD42
	s_cmp_ge_u32 s59, s73                                      // 00000000781C: BF09493B
	s_cselect_b32 s66, s67, s66                                // 000000007820: 85424243
	v_mfma_f32_16x16x16_bf16 v[132:135], v[68:69], a[90:91], v[132:135]// 000000007824: D3E10084 1612B544
	s_addk_i32 s59, 0x10                                       // 00000000782C: B73B0010
	s_nop 0                                                    // 000000007830: BF800000
	s_cmp_lt_i32 s59, s58                                      // 000000007834: BF043A3B
	v_mfma_f32_16x16x16_bf16 v[132:135], v[70:71], a[94:95], v[132:135]// 000000007838: D3E10084 1612BD46
	s_cbranch_scc0 label_0E9C                                  // 000000007840: BF840001
	s_branch label_0887                                        // 000000007844: BF82F9F5

0000000000007848 <label_0E9C>:
	s_nop 0                                                    // 000000007848: BF800000
	s_nop 0                                                    // 00000000784C: BF800000
	s_branch label_14B4                                        // 000000007850: BF82060B

0000000000007854 <label_0E9F>:
	s_waitcnt lgkmcnt(0)                                       // 000000007854: BF8CC07F
	s_barrier                                                  // 000000007858: BF8A0000
	v_mfma_f32_16x16x16_bf16 v[48:51], a[144:145], a[0:1], 0   // 00000000785C: D3E10030 1A020190
	v_mul_f32_e32 v128, s47, v128                              // 000000007864: 0B01002F
	v_mul_f32_e32 v129, s47, v129                              // 000000007868: 0B03022F
	v_mfma_f32_16x16x16_bf16 v[48:51], a[146:147], a[2:3], v[48:51]// 00000000786C: D3E10030 1CC20592
	ds_write_b32 v11, v44 offset:8704                          // 000000007874: D81A2200 00002C0B
	ds_write_b32 v11, v45 offset:9760                          // 00000000787C: D81A2620 00002D0B
	v_mfma_f32_16x16x16_bf16 v[48:51], a[148:149], a[4:5], v[48:51]// 000000007884: D3E10030 1CC20994
	v_mul_f32_e32 v130, s47, v130                              // 00000000788C: 0B05042F
	v_mul_f32_e32 v131, s47, v131                              // 000000007890: 0B07062F
	v_mfma_f32_16x16x16_bf16 v[48:51], a[150:151], a[6:7], v[48:51]// 000000007894: D3E10030 1CC20D96
	ds_write_b32 v11, v46 offset:8832                          // 00000000789C: D81A2280 00002E0B
	ds_write_b32 v11, v47 offset:9888                          // 0000000078A4: D81A26A0 00002F0B
	v_mfma_f32_16x16x16_bf16 v[48:51], a[152:153], a[8:9], v[48:51]// 0000000078AC: D3E10030 1CC21198
	v_mul_f32_e32 v132, s47, v132                              // 0000000078B4: 0B09082F
	v_mul_f32_e32 v133, s47, v133                              // 0000000078B8: 0B0B0A2F
	v_mfma_f32_16x16x16_bf16 v[48:51], a[154:155], a[10:11], v[48:51]// 0000000078BC: D3E10030 1CC2159A
	ds_write_b64 v20, v[128:129] offset:24320                  // 0000000078C4: D89A5F00 00008014
	v_mfma_f32_16x16x16_bf16 v[48:51], a[156:157], a[12:13], v[48:51]// 0000000078CC: D3E10030 1CC2199C
	v_mul_f32_e32 v134, s47, v134                              // 0000000078D4: 0B0D0C2F
	v_mul_f32_e32 v135, s47, v135                              // 0000000078D8: 0B0F0E2F
	v_mfma_f32_16x16x16_bf16 v[48:51], a[158:159], a[14:15], v[48:51]// 0000000078DC: D3E10030 1CC21D9E
	ds_write_b64 v20, v[130:131] offset:24832                  // 0000000078E4: D89A6100 00008214
	v_mfma_f32_16x16x16_bf16 v[52:55], a[144:145], a[16:17], 0 // 0000000078EC: D3E10034 1A022190
	buffer_atomic_add_f32 v140, v7, s[32:35], 0 offen offset:256// 0000000078F4: E1341100 80088C07
	v_mfma_f32_16x16x16_bf16 v[52:55], a[146:147], a[18:19], v[52:55]// 0000000078FC: D3E10034 1CD22592
	ds_write_b64 v20, v[132:133] offset:25344                  // 000000007904: D89A6300 00008414
	v_mfma_f32_16x16x16_bf16 v[52:55], a[148:149], a[20:21], v[52:55]// 00000000790C: D3E10034 1CD22994
	v_mfma_f32_16x16x16_bf16 v[52:55], a[150:151], a[22:23], v[52:55]// 000000007914: D3E10034 1CD22D96
	ds_write_b64 v20, v[134:135] offset:25856                  // 00000000791C: D89A6500 00008614
	v_mfma_f32_16x16x16_bf16 v[52:55], a[152:153], a[24:25], v[52:55]// 000000007924: D3E10034 1CD23198
	buffer_atomic_add_f32 v141, v8, s[32:35], 0 offen offset:256// 00000000792C: E1341100 80088D08
	v_mfma_f32_16x16x16_bf16 v[52:55], a[154:155], a[26:27], v[52:55]// 000000007934: D3E10034 1CD2359A
	ds_read_b128 v[108:111], v12 offset:13056                  // 00000000793C: D9FE3300 6C00000C
	ds_write_b32 v11, v36                                      // 000000007944: D81A0000 0000240B
	v_mfma_f32_16x16x16_bf16 v[52:55], a[156:157], a[28:29], v[52:55]// 00000000794C: D3E10034 1CD2399C
	v_mfma_f32_16x16x16_bf16 v[52:55], a[158:159], a[30:31], v[52:55]// 000000007954: D3E10034 1CD23D9E
	v_mfma_f32_16x16x16_bf16 v[56:59], a[144:145], a[32:33], 0 // 00000000795C: D3E10038 1A024190
	ds_read_b128 v[112:115], v12 offset:13568                  // 000000007964: D9FE3500 7000000C
	ds_write_b32 v11, v37 offset:1056                          // 00000000796C: D81A0420 0000250B
	v_mfma_f32_16x16x16_bf16 v[56:59], a[146:147], a[34:35], v[56:59]// 000000007974: D3E10038 1CE24592
	buffer_atomic_add_f32 v142, v7, s[32:35], 0 offen offset:384// 00000000797C: E1341180 80088E07
	v_mfma_f32_16x16x16_bf16 v[56:59], a[148:149], a[36:37], v[56:59]// 000000007984: D3E10038 1CE24994
	v_mfma_f32_16x16x16_bf16 v[56:59], a[150:151], a[38:39], v[56:59]// 00000000798C: D3E10038 1CE24D96
	ds_read_b128 v[116:119], v12 offset:15232                  // 000000007994: D9FE3B80 7400000C
	ds_write_b32 v11, v38 offset:128                           // 00000000799C: D81A0080 0000260B
	v_mfma_f32_16x16x16_bf16 v[56:59], a[152:153], a[40:41], v[56:59]// 0000000079A4: D3E10038 1CE25198
	v_mfma_f32_16x16x16_bf16 v[56:59], a[154:155], a[42:43], v[56:59]// 0000000079AC: D3E10038 1CE2559A
	buffer_atomic_add_f32 v143, v8, s[32:35], 0 offen offset:384// 0000000079B4: E1341180 80088F08
	v_mfma_f32_16x16x16_bf16 v[56:59], a[156:157], a[44:45], v[56:59]// 0000000079BC: D3E10038 1CE2599C
	ds_read_b128 v[120:123], v12 offset:15744                  // 0000000079C4: D9FE3D80 7800000C
	ds_write_b32 v11, v39 offset:1184                          // 0000000079CC: D81A04A0 0000270B
	v_mfma_f32_16x16x16_bf16 v[56:59], a[158:159], a[46:47], v[56:59]// 0000000079D4: D3E10038 1CE25D9E
	s_cmp_lt_i32 s74, 12                                       // 0000000079DC: BF048C4A
	s_cbranch_scc0 label_0F78                                  // 0000000079E0: BF840075
	s_mov_b32 s60, 0xffe0fffe                                  // 0000000079E4: BEBC00FF FFE0FFFE
	s_mov_b32 s61, 0xe000fe00                                  // 0000000079EC: BEBD00FF E000FE00
	s_nop 0                                                    // 0000000079F4: BF800000
	s_add_u32 s62, 0, s46                                      // 0000000079F8: 803E2E80
	s_cmp_lt_i32 s74, s62                                      // 0000000079FC: BF043E4A
	s_cbranch_scc1 label_0F33                                  // 000000007A00: BF850028
	s_cmp_eq_i32 s74, s62                                      // 000000007A04: BF003E4A
	s_cbranch_scc1 label_0F18                                  // 000000007A08: BF85000B
	s_add_u32 s62, 4, s46                                      // 000000007A0C: 803E2E84
	s_cmp_lt_i32 s74, s62                                      // 000000007A10: BF043E4A
	s_cbranch_scc1 label_0F53                                  // 000000007A14: BF850043
	s_cmp_eq_i32 s74, s62                                      // 000000007A18: BF003E4A
	s_cbranch_scc1 label_0F38                                  // 000000007A1C: BF850026
	s_add_u32 s62, 8, s46                                      // 000000007A20: 803E2E88
	s_cmp_lt_i32 s74, s62                                      // 000000007A24: BF043E4A
	s_cbranch_scc1 label_0F73                                  // 000000007A28: BF85005E
	s_cmp_eq_i32 s74, s62                                      // 000000007A2C: BF003E4A
	s_cbranch_scc1 label_0F58                                  // 000000007A30: BF850041
	s_branch label_0F78                                        // 000000007A34: BF820060

0000000000007a38 <label_0F18>:
	v_cndmask_b32_e64 v48, v48, v151, s[60:61]                 // 000000007A38: D1000030 00F32F30
	s_lshl_b32 s60, s60, 1                                     // 000000007A40: 8E3C813C
	s_lshl_b32 s61, s61, 1                                     // 000000007A44: 8E3D813D
	s_and_b32 s60, 0xfffeffff, s60                             // 000000007A48: 863C3CFF FFFEFFFF
	s_and_b32 s61, 0xfffeffff, s61                             // 000000007A50: 863D3DFF FFFEFFFF
	v_cndmask_b32_e64 v49, v49, v151, s[60:61]                 // 000000007A58: D1000031 00F32F31
	s_lshl_b32 s60, s60, 1                                     // 000000007A60: 8E3C813C
	s_lshl_b32 s61, s61, 1                                     // 000000007A64: 8E3D813D
	s_and_b32 s60, 0xfffeffff, s60                             // 000000007A68: 863C3CFF FFFEFFFF
	s_and_b32 s61, 0xfffeffff, s61                             // 000000007A70: 863D3DFF FFFEFFFF
	v_cndmask_b32_e64 v50, v50, v151, s[60:61]                 // 000000007A78: D1000032 00F32F32
	s_lshl_b32 s60, s60, 1                                     // 000000007A80: 8E3C813C
	s_lshl_b32 s61, s61, 1                                     // 000000007A84: 8E3D813D
	s_and_b32 s60, 0xfffeffff, s60                             // 000000007A88: 863C3CFF FFFEFFFF
	s_and_b32 s61, 0xfffeffff, s61                             // 000000007A90: 863D3DFF FFFEFFFF
	v_cndmask_b32_e64 v51, v51, v151, s[60:61]                 // 000000007A98: D1000033 00F32F33
	s_branch label_0F53                                        // 000000007AA0: BF820020

0000000000007aa4 <label_0F33>:
	v_mov_b32_e32 v48, v151                                    // 000000007AA4: 7E600397
	v_mov_b32_e32 v49, v151                                    // 000000007AA8: 7E620397
	v_mov_b32_e32 v50, v151                                    // 000000007AAC: 7E640397
	v_mov_b32_e32 v51, v151                                    // 000000007AB0: 7E660397
	s_branch label_0F53                                        // 000000007AB4: BF82001B

0000000000007ab8 <label_0F38>:
	v_cndmask_b32_e64 v52, v52, v151, s[60:61]                 // 000000007AB8: D1000034 00F32F34
	s_lshl_b32 s60, s60, 1                                     // 000000007AC0: 8E3C813C
	s_lshl_b32 s61, s61, 1                                     // 000000007AC4: 8E3D813D
	s_and_b32 s60, 0xfffeffff, s60                             // 000000007AC8: 863C3CFF FFFEFFFF
	s_and_b32 s61, 0xfffeffff, s61                             // 000000007AD0: 863D3DFF FFFEFFFF
	v_cndmask_b32_e64 v53, v53, v151, s[60:61]                 // 000000007AD8: D1000035 00F32F35
	s_lshl_b32 s60, s60, 1                                     // 000000007AE0: 8E3C813C
	s_lshl_b32 s61, s61, 1                                     // 000000007AE4: 8E3D813D
	s_and_b32 s60, 0xfffeffff, s60                             // 000000007AE8: 863C3CFF FFFEFFFF
	s_and_b32 s61, 0xfffeffff, s61                             // 000000007AF0: 863D3DFF FFFEFFFF
	v_cndmask_b32_e64 v54, v54, v151, s[60:61]                 // 000000007AF8: D1000036 00F32F36
	s_lshl_b32 s60, s60, 1                                     // 000000007B00: 8E3C813C
	s_lshl_b32 s61, s61, 1                                     // 000000007B04: 8E3D813D
	s_and_b32 s60, 0xfffeffff, s60                             // 000000007B08: 863C3CFF FFFEFFFF
	s_and_b32 s61, 0xfffeffff, s61                             // 000000007B10: 863D3DFF FFFEFFFF
	v_cndmask_b32_e64 v55, v55, v151, s[60:61]                 // 000000007B18: D1000037 00F32F37
	s_branch label_0F73                                        // 000000007B20: BF820020

0000000000007b24 <label_0F53>:
	v_mov_b32_e32 v52, v151                                    // 000000007B24: 7E680397
	v_mov_b32_e32 v53, v151                                    // 000000007B28: 7E6A0397
	v_mov_b32_e32 v54, v151                                    // 000000007B2C: 7E6C0397
	v_mov_b32_e32 v55, v151                                    // 000000007B30: 7E6E0397
	s_branch label_0F73                                        // 000000007B34: BF82001B

0000000000007b38 <label_0F58>:
	v_cndmask_b32_e64 v56, v56, v151, s[60:61]                 // 000000007B38: D1000038 00F32F38
	s_lshl_b32 s60, s60, 1                                     // 000000007B40: 8E3C813C
	s_lshl_b32 s61, s61, 1                                     // 000000007B44: 8E3D813D
	s_and_b32 s60, 0xfffeffff, s60                             // 000000007B48: 863C3CFF FFFEFFFF
	s_and_b32 s61, 0xfffeffff, s61                             // 000000007B50: 863D3DFF FFFEFFFF
	v_cndmask_b32_e64 v57, v57, v151, s[60:61]                 // 000000007B58: D1000039 00F32F39
	s_lshl_b32 s60, s60, 1                                     // 000000007B60: 8E3C813C
	s_lshl_b32 s61, s61, 1                                     // 000000007B64: 8E3D813D
	s_and_b32 s60, 0xfffeffff, s60                             // 000000007B68: 863C3CFF FFFEFFFF
	s_and_b32 s61, 0xfffeffff, s61                             // 000000007B70: 863D3DFF FFFEFFFF
	v_cndmask_b32_e64 v58, v58, v151, s[60:61]                 // 000000007B78: D100003A 00F32F3A
	s_lshl_b32 s60, s60, 1                                     // 000000007B80: 8E3C813C
	s_lshl_b32 s61, s61, 1                                     // 000000007B84: 8E3D813D
	s_and_b32 s60, 0xfffeffff, s60                             // 000000007B88: 863C3CFF FFFEFFFF
	s_and_b32 s61, 0xfffeffff, s61                             // 000000007B90: 863D3DFF FFFEFFFF
	v_cndmask_b32_e64 v59, v59, v151, s[60:61]                 // 000000007B98: D100003B 00F32F3B
	s_branch label_0F78                                        // 000000007BA0: BF820005

0000000000007ba4 <label_0F73>:
	v_mov_b32_e32 v56, v151                                    // 000000007BA4: 7E700397
	v_mov_b32_e32 v57, v151                                    // 000000007BA8: 7E720397
	v_mov_b32_e32 v58, v151                                    // 000000007BAC: 7E740397
	v_mov_b32_e32 v59, v151                                    // 000000007BB0: 7E760397
	s_branch label_0F78                                        // 000000007BB4: BF820000

0000000000007bb8 <label_0F78>:
	s_cmp_lt_i32 s84, 0xc0                                     // 000000007BB8: BF04FF54 000000C0
	s_cbranch_scc0 label_0FCD                                  // 000000007BC0: BF84004D
	s_cmp_le_i32 s84, 64                                       // 000000007BC4: BF05C054
	s_cbranch_scc1 label_0F84                                  // 000000007BC8: BF850007
	s_cmp_le_i32 s84, 0x80                                     // 000000007BCC: BF05FF54 00000080
	s_cbranch_scc1 label_0F9C                                  // 000000007BD4: BF850017
	s_cmp_lt_i32 s84, 0xc0                                     // 000000007BD8: BF04FF54 000000C0
	s_cbranch_scc1 label_0FB4                                  // 000000007BE0: BF85002C
	s_branch label_0FCD                                        // 000000007BE4: BF820044

0000000000007be8 <label_0F84>:
	s_mov_b32 s60, 0                                           // 000000007BE8: BEBC0080
	v_and_b32_e32 v28, 15, v0                                  // 000000007BEC: 2638008F
	v_add_u32_e64 v28, v28, s60                                // 000000007BF0: D134001C 0000791C
	v_mul_i32_i24_e64 v29, s46, 16                             // 000000007BF8: D106001D 0001202E
	v_add_u32_e32 v28, v28, v29                                // 000000007C00: 68383B1C
	v_cmp_lt_u32_e64 s[60:61], v28, s84                        // 000000007C04: D0C9003C 0000A91C
	s_nop 1                                                    // 000000007C0C: BF800001
	v_cndmask_b32_e64 v48, v151, v48, s[60:61]                 // 000000007C10: D1000030 00F26197
	v_cndmask_b32_e64 v49, v151, v49, s[60:61]                 // 000000007C18: D1000031 00F26397
	v_cndmask_b32_e64 v50, v151, v50, s[60:61]                 // 000000007C20: D1000032 00F26597
	v_cndmask_b32_e64 v51, v151, v51, s[60:61]                 // 000000007C28: D1000033 00F26797
	s_branch label_0FAF                                        // 000000007C30: BF820013

0000000000007c34 <label_0F9C>:
	s_mov_b32 s60, 64                                          // 000000007C34: BEBC00C0
	v_and_b32_e32 v28, 15, v0                                  // 000000007C38: 2638008F
	v_add_u32_e64 v28, v28, s60                                // 000000007C3C: D134001C 0000791C
	v_mul_i32_i24_e64 v29, s46, 16                             // 000000007C44: D106001D 0001202E
	v_add_u32_e32 v28, v28, v29                                // 000000007C4C: 68383B1C
	v_cmp_lt_u32_e64 s[60:61], v28, s84                        // 000000007C50: D0C9003C 0000A91C
	s_nop 1                                                    // 000000007C58: BF800001
	v_cndmask_b32_e64 v52, v151, v52, s[60:61]                 // 000000007C5C: D1000034 00F26997
	v_cndmask_b32_e64 v53, v151, v53, s[60:61]                 // 000000007C64: D1000035 00F26B97
	v_cndmask_b32_e64 v54, v151, v54, s[60:61]                 // 000000007C6C: D1000036 00F26D97
	v_cndmask_b32_e64 v55, v151, v55, s[60:61]                 // 000000007C74: D1000037 00F26F97
	s_branch label_0FC8                                        // 000000007C7C: BF820019

0000000000007c80 <label_0FAF>:
	v_mov_b32_e32 v52, v151                                    // 000000007C80: 7E680397
	v_mov_b32_e32 v53, v151                                    // 000000007C84: 7E6A0397
	v_mov_b32_e32 v54, v151                                    // 000000007C88: 7E6C0397
	v_mov_b32_e32 v55, v151                                    // 000000007C8C: 7E6E0397
	s_branch label_0FC8                                        // 000000007C90: BF820014

0000000000007c94 <label_0FB4>:
	s_mov_b32 s60, 0x80                                        // 000000007C94: BEBC00FF 00000080
	v_and_b32_e32 v28, 15, v0                                  // 000000007C9C: 2638008F
	v_add_u32_e64 v28, v28, s60                                // 000000007CA0: D134001C 0000791C
	v_mul_i32_i24_e64 v29, s46, 16                             // 000000007CA8: D106001D 0001202E
	v_add_u32_e32 v28, v28, v29                                // 000000007CB0: 68383B1C
	v_cmp_lt_u32_e64 s[60:61], v28, s84                        // 000000007CB4: D0C9003C 0000A91C
	s_nop 1                                                    // 000000007CBC: BF800001
	v_cndmask_b32_e64 v56, v151, v56, s[60:61]                 // 000000007CC0: D1000038 00F27197
	v_cndmask_b32_e64 v57, v151, v57, s[60:61]                 // 000000007CC8: D1000039 00F27397
	v_cndmask_b32_e64 v58, v151, v58, s[60:61]                 // 000000007CD0: D100003A 00F27597
	v_cndmask_b32_e64 v59, v151, v59, s[60:61]                 // 000000007CD8: D100003B 00F27797
	s_branch label_0FCD                                        // 000000007CE0: BF820005

0000000000007ce4 <label_0FC8>:
	v_mov_b32_e32 v56, v151                                    // 000000007CE4: 7E700397
	v_mov_b32_e32 v57, v151                                    // 000000007CE8: 7E720397
	v_mov_b32_e32 v58, v151                                    // 000000007CEC: 7E740397
	v_mov_b32_e32 v59, v151                                    // 000000007CF0: 7E760397
	s_branch label_0FCD                                        // 000000007CF4: BF820000

0000000000007cf8 <label_0FCD>:
	s_addk_i32 s74, 0x1                                        // 000000007CF8: B74A0001
	s_waitcnt lgkmcnt(8)                                       // 000000007CFC: BF8CC87F
	s_barrier                                                  // 000000007D00: BF8A0000
	v_mfma_f32_16x16x16_bf16 v[72:75], v[92:93], a[96:97], 0   // 000000007D04: D3E10048 1202C15C
	v_fma_f32 v48, v48, s57, -v124                             // 000000007D0C: D1CB0030 85F07330
	v_fma_f32 v49, v49, s57, -v125                             // 000000007D14: D1CB0031 85F47331
	v_fma_f32 v50, v50, s57, -v126                             // 000000007D1C: D1CB0032 85F87332
	v_mfma_f32_16x16x16_bf16 v[72:75], v[94:95], a[98:99], v[72:75]// 000000007D24: D3E10048 1522C55E
	ds_read_b128 a[144:147], v12 offset:4352                   // 000000007D2C: DBFE1100 9000000C
	ds_read_b128 a[148:151], v12 offset:4864                   // 000000007D34: DBFE1300 9400000C
	v_mfma_f32_16x16x16_bf16 v[72:75], v[96:97], a[100:101], v[72:75]// 000000007D3C: D3E10048 1522C960
	v_fma_f32 v51, v51, s57, -v127                             // 000000007D44: D1CB0033 85FC7333
	v_fma_f32 v52, v52, s57, -v124                             // 000000007D4C: D1CB0034 85F07334
	v_fma_f32 v53, v53, s57, -v125                             // 000000007D54: D1CB0035 85F47335
	v_mfma_f32_16x16x16_bf16 v[72:75], v[98:99], a[102:103], v[72:75]// 000000007D5C: D3E10048 1522CD62
	v_fma_f32 v54, v54, s57, -v126                             // 000000007D64: D1CB0036 85F87336
	v_fma_f32 v55, v55, s57, -v127                             // 000000007D6C: D1CB0037 85FC7337
	v_fma_f32 v56, v56, s57, -v124                             // 000000007D74: D1CB0038 85F07338
	v_mfma_f32_16x16x16_bf16 v[72:75], v[100:101], a[104:105], v[72:75]// 000000007D7C: D3E10048 1522D164
	v_fma_f32 v57, v57, s57, -v125                             // 000000007D84: D1CB0039 85F47339
	v_fma_f32 v58, v58, s57, -v126                             // 000000007D8C: D1CB003A 85F8733A
	v_fma_f32 v59, v59, s57, -v127                             // 000000007D94: D1CB003B 85FC733B
	v_mfma_f32_16x16x16_bf16 v[72:75], v[102:103], a[106:107], v[72:75]// 000000007D9C: D3E10048 1522D566
	ds_read_b128 a[152:155], v12 offset:6528                   // 000000007DA4: DBFE1980 9800000C
	ds_read_b128 a[156:159], v12 offset:7040                   // 000000007DAC: DBFE1B80 9C00000C
	v_mfma_f32_16x16x16_bf16 v[72:75], v[104:105], a[108:109], v[72:75]// 000000007DB4: D3E10048 1522D968
	v_exp_f32_e32 v48, v48                                     // 000000007DBC: 7E604130
	v_mfma_f32_16x16x16_bf16 v[72:75], v[106:107], a[110:111], v[72:75]// 000000007DC0: D3E10048 1522DD6A
	v_exp_f32_e32 v49, v49                                     // 000000007DC8: 7E624131
	v_mfma_f32_16x16x16_bf16 v[76:79], v[92:93], a[112:113], 0 // 000000007DCC: D3E1004C 1202E15C
	v_exp_f32_e32 v50, v50                                     // 000000007DD4: 7E644132
	v_mfma_f32_16x16x16_bf16 v[76:79], v[94:95], a[114:115], v[76:79]// 000000007DD8: D3E1004C 1532E55E
	ds_read_b64 v[136:137], v19 offset:24320                   // 000000007DE0: D8EC5F00 88000013
	ds_read_b64 v[138:139], v19 offset:26368                   // 000000007DE8: D8EC6700 8A000013
	v_mfma_f32_16x16x16_bf16 v[76:79], v[96:97], a[116:117], v[76:79]// 000000007DF0: D3E1004C 1532E960
	v_exp_f32_e32 v51, v51                                     // 000000007DF8: 7E664133
	v_mfma_f32_16x16x16_bf16 v[76:79], v[98:99], a[118:119], v[76:79]// 000000007DFC: D3E1004C 1532ED62
	ds_read_b64 v[140:141], v19 offset:28416                   // 000000007E04: D8EC6F00 8C000013
	ds_read_b64 v[142:143], v19 offset:30464                   // 000000007E0C: D8EC7700 8E000013
	v_mfma_f32_16x16x16_bf16 v[76:79], v[100:101], a[120:121], v[76:79]// 000000007E14: D3E1004C 1532F164
	v_exp_f32_e32 v52, v52                                     // 000000007E1C: 7E684134
	v_mfma_f32_16x16x16_bf16 v[76:79], v[102:103], a[122:123], v[76:79]// 000000007E20: D3E1004C 1532F566
	v_exp_f32_e32 v53, v53                                     // 000000007E28: 7E6A4135
	v_mfma_f32_16x16x16_bf16 v[76:79], v[104:105], a[124:125], v[76:79]// 000000007E2C: D3E1004C 1532F968
	v_exp_f32_e32 v54, v54                                     // 000000007E34: 7E6C4136
	v_mfma_f32_16x16x16_bf16 v[76:79], v[106:107], a[126:127], v[76:79]// 000000007E38: D3E1004C 1532FD6A
	v_exp_f32_e32 v55, v55                                     // 000000007E40: 7E6E4137
	v_mfma_f32_16x16x16_bf16 v[80:83], v[92:93], a[128:129], 0 // 000000007E44: D3E10050 1203015C
	v_exp_f32_e32 v56, v56                                     // 000000007E4C: 7E704138
	v_mfma_f32_16x16x16_bf16 v[80:83], v[94:95], a[130:131], v[80:83]// 000000007E50: D3E10050 1543055E
	v_exp_f32_e32 v57, v57                                     // 000000007E58: 7E724139
	v_mfma_f32_16x16x16_bf16 v[80:83], v[96:97], a[132:133], v[80:83]// 000000007E5C: D3E10050 15430960
	v_exp_f32_e32 v58, v58                                     // 000000007E64: 7E74413A
	v_mfma_f32_16x16x16_bf16 v[80:83], v[98:99], a[134:135], v[80:83]// 000000007E68: D3E10050 15430D62
	v_exp_f32_e32 v59, v59                                     // 000000007E70: 7E76413B
	v_mfma_f32_16x16x16_bf16 v[80:83], v[100:101], a[136:137], v[80:83]// 000000007E74: D3E10050 15431164
	v_perm_b32 v144, v49, v48, s64                             // 000000007E7C: D1ED0090 01026131
	v_perm_b32 v145, v51, v50, s64                             // 000000007E84: D1ED0091 01026533
	v_perm_b32 v146, v53, v52, s64                             // 000000007E8C: D1ED0092 01026935
	v_mfma_f32_16x16x16_bf16 v[80:83], v[102:103], a[138:139], v[80:83]// 000000007E94: D3E10050 15431566
	v_perm_b32 v147, v55, v54, s64                             // 000000007E9C: D1ED0093 01026D37
	v_perm_b32 v148, v57, v56, s64                             // 000000007EA4: D1ED0094 01027139
	v_perm_b32 v149, v59, v58, s64                             // 000000007EAC: D1ED0095 0102753B
	v_mfma_f32_16x16x16_bf16 v[80:83], v[104:105], a[140:141], v[80:83]// 000000007EB4: D3E10050 15431968
	v_add_u32_e32 v7, s66, v7                                  // 000000007EBC: 680E0E42
	v_add_u32_e32 v8, s66, v8                                  // 000000007EC0: 68101042
	v_mfma_f32_16x16x16_bf16 v[80:83], v[106:107], a[142:143], v[80:83]// 000000007EC4: D3E10050 15431D6A
	s_waitcnt lgkmcnt(0)                                       // 000000007ECC: BF8CC07F
	s_barrier                                                  // 000000007ED0: BF8A0000
	v_mfma_f32_16x16x16_bf16 v[152:155], v[108:109], v[144:145], v[152:155]// 000000007ED4: D3E10098 0663216C
	v_subrev_f32_dpp v72, v150, v72 quad_perm:[0,0,0,0] row_mask:0xf bank_mask:0xf// 000000007EDC: 069090FA FF000096
	v_subrev_f32_dpp v73, v150, v73 quad_perm:[1,1,1,1] row_mask:0xf bank_mask:0xf// 000000007EE4: 069292FA FF005596
	v_subrev_f32_dpp v74, v150, v74 quad_perm:[2,2,2,2] row_mask:0xf bank_mask:0xf// 000000007EEC: 069494FA FF00AA96
	v_mfma_f32_16x16x16_bf16 v[156:159], v[110:111], v[144:145], v[156:159]// 000000007EF4: D3E1009C 0673216E
	v_subrev_f32_dpp v75, v150, v75 quad_perm:[3,3,3,3] row_mask:0xf bank_mask:0xf// 000000007EFC: 069696FA FF00FF96
	v_subrev_f32_dpp v76, v150, v76 quad_perm:[0,0,0,0] row_mask:0xf bank_mask:0xf// 000000007F04: 069898FA FF000096
	v_subrev_f32_dpp v77, v150, v77 quad_perm:[1,1,1,1] row_mask:0xf bank_mask:0xf// 000000007F0C: 069A9AFA FF005596
	v_mfma_f32_16x16x16_bf16 v[160:163], v[112:113], v[144:145], v[160:163]// 000000007F14: D3E100A0 06832170
	v_mul_f32_e32 v72, v48, v72                                // 000000007F1C: 0A909130
	v_mul_f32_e32 v73, v49, v73                                // 000000007F20: 0A929331
	v_mul_f32_e32 v74, v50, v74                                // 000000007F24: 0A949532
	v_mfma_f32_16x16x16_bf16 v[164:167], v[114:115], v[144:145], v[164:167]// 000000007F28: D3E100A4 06932172
	v_mul_f32_e32 v75, v51, v75                                // 000000007F30: 0A969733
	v_mul_f32_e32 v76, v52, v76                                // 000000007F34: 0A989934
	v_mul_f32_e32 v77, v53, v77                                // 000000007F38: 0A9A9B35
	v_mfma_f32_16x16x16_bf16 v[168:171], v[116:117], v[144:145], v[168:171]// 000000007F3C: D3E100A8 06A32174
	v_perm_b32 v72, v73, v72, s64                              // 000000007F44: D1ED0048 01029149
	v_perm_b32 v73, v75, v74, s64                              // 000000007F4C: D1ED0049 0102954B
	v_perm_b32 v74, v77, v76, s64                              // 000000007F54: D1ED004A 0102994D
	v_mfma_f32_16x16x16_bf16 v[172:175], v[118:119], v[144:145], v[172:175]// 000000007F5C: D3E100AC 06B32176
	v_mov_b32_dpp v16, v72 quad_perm:[1,0,3,2] row_mask:0xf bank_mask:0xf// 000000007F64: 7E2002FA FF00B148
	v_perm_b32 v48, v16, v72, v15                              // 000000007F6C: D1ED0030 043E9110
	v_mov_b32_dpp v16, v73 quad_perm:[1,0,3,2] row_mask:0xf bank_mask:0xf// 000000007F74: 7E2002FA FF00B149
	v_mfma_f32_16x16x16_bf16 v[176:179], v[120:121], v[144:145], v[176:179]// 000000007F7C: D3E100B0 06C32178
	ds_write_b32 v18, v48 offset:17408                         // 000000007F84: D81A4400 00003012
	v_mfma_f32_16x16x16_bf16 v[180:183], v[122:123], v[144:145], v[180:183]// 000000007F8C: D3E100B4 06D3217A
	v_perm_b32 v49, v16, v73, v15                              // 000000007F94: D1ED0031 043E9310
	v_mov_b32_dpp v16, v74 quad_perm:[1,0,3,2] row_mask:0xf bank_mask:0xf// 000000007F9C: 7E2002FA FF00B14A
	v_perm_b32 v50, v16, v74, v15                              // 000000007FA4: D1ED0032 043E9510
	v_mfma_f32_16x16x16_bf16 v[184:187], v[108:109], v[146:147], v[184:187]// 000000007FAC: D3E100B8 06E3256C
	ds_write_b32 v18, v49 offset:17952                         // 000000007FB4: D81A4620 00003112
	v_mfma_f32_16x16x16_bf16 v[188:191], v[110:111], v[146:147], v[188:191]// 000000007FBC: D3E100BC 06F3256E
	v_subrev_f32_dpp v78, v150, v78 quad_perm:[2,2,2,2] row_mask:0xf bank_mask:0xf// 000000007FC4: 069C9CFA FF00AA96
	v_subrev_f32_dpp v79, v150, v79 quad_perm:[3,3,3,3] row_mask:0xf bank_mask:0xf// 000000007FCC: 069E9EFA FF00FF96
	v_subrev_f32_dpp v80, v150, v80 quad_perm:[0,0,0,0] row_mask:0xf bank_mask:0xf// 000000007FD4: 06A0A0FA FF000096
	v_mfma_f32_16x16x16_bf16 v[192:195], v[112:113], v[146:147], v[192:195]// 000000007FDC: D3E100C0 07032570
	ds_write_b32 v18, v50 offset:19712                         // 000000007FE4: D81A4D00 00003212
	v_mfma_f32_16x16x16_bf16 v[196:199], v[114:115], v[146:147], v[196:199]// 000000007FEC: D3E100C4 07132572
	v_subrev_f32_dpp v81, v150, v81 quad_perm:[1,1,1,1] row_mask:0xf bank_mask:0xf// 000000007FF4: 06A2A2FA FF005596
	v_subrev_f32_dpp v82, v150, v82 quad_perm:[2,2,2,2] row_mask:0xf bank_mask:0xf// 000000007FFC: 06A4A4FA FF00AA96
	v_subrev_f32_dpp v83, v150, v83 quad_perm:[3,3,3,3] row_mask:0xf bank_mask:0xf// 000000008004: 06A6A6FA FF00FF96
	v_mfma_f32_16x16x16_bf16 v[200:203], v[116:117], v[146:147], v[200:203]// 00000000800C: D3E100C8 07232574
	v_mul_f32_e32 v78, v54, v78                                // 000000008014: 0A9C9D36
	v_mul_f32_e32 v79, v55, v79                                // 000000008018: 0A9E9F37
	v_mul_f32_e32 v80, v56, v80                                // 00000000801C: 0AA0A138
	v_mfma_f32_16x16x16_bf16 v[204:207], v[118:119], v[146:147], v[204:207]// 000000008020: D3E100CC 07332576
	v_mul_f32_e32 v81, v57, v81                                // 000000008028: 0AA2A339
	v_mul_f32_e32 v82, v58, v82                                // 00000000802C: 0AA4A53A
	v_mul_f32_e32 v83, v59, v83                                // 000000008030: 0AA6A73B
	v_mfma_f32_16x16x16_bf16 v[208:211], v[120:121], v[146:147], v[208:211]// 000000008034: D3E100D0 07432578
	v_perm_b32 v75, v79, v78, s64                              // 00000000803C: D1ED004B 01029D4F
	v_perm_b32 v76, v81, v80, s64                              // 000000008044: D1ED004C 0102A151
	v_perm_b32 v77, v83, v82, s64                              // 00000000804C: D1ED004D 0102A553
	v_mfma_f32_16x16x16_bf16 v[212:215], v[122:123], v[146:147], v[212:215]// 000000008054: D3E100D4 0753257A
	v_mov_b32_dpp v16, v75 quad_perm:[1,0,3,2] row_mask:0xf bank_mask:0xf// 00000000805C: 7E2002FA FF00B14B
	v_perm_b32 v51, v16, v75, v15                              // 000000008064: D1ED0033 043E9710
	v_mov_b32_dpp v16, v76 quad_perm:[1,0,3,2] row_mask:0xf bank_mask:0xf// 00000000806C: 7E2002FA FF00B14C
	v_mfma_f32_16x16x16_bf16 v[216:219], v[108:109], v[148:149], v[216:219]// 000000008074: D3E100D8 0763296C
	ds_write_b32 v18, v51 offset:20256                         // 00000000807C: D81A4F20 00003312
	v_mfma_f32_16x16x16_bf16 v[220:223], v[110:111], v[148:149], v[220:223]// 000000008084: D3E100DC 0773296E
	v_perm_b32 v52, v16, v76, v15                              // 00000000808C: D1ED0034 043E9910
	v_mov_b32_dpp v16, v77 quad_perm:[1,0,3,2] row_mask:0xf bank_mask:0xf// 000000008094: 7E2002FA FF00B14D
	v_perm_b32 v53, v16, v77, v15                              // 00000000809C: D1ED0035 043E9B10
	v_mfma_f32_16x16x16_bf16 v[224:227], v[112:113], v[148:149], v[224:227]// 0000000080A4: D3E100E0 07832970
	ds_write_b32 v18, v52 offset:22016                         // 0000000080AC: D81A5600 00003412
	ds_write_b32 v18, v53 offset:22560                         // 0000000080B4: D81A5820 00003512
	v_mfma_f32_16x16x16_bf16 v[228:231], v[114:115], v[148:149], v[228:231]// 0000000080BC: D3E100E4 07932972
	v_mfma_f32_16x16x16_bf16 v[232:235], v[116:117], v[148:149], v[232:235]// 0000000080C4: D3E100E8 07A32974
	ds_write_b32 v13, v84 offset:4352                          // 0000000080CC: D81A1100 0000540D
	ds_write_b32 v13, v85 offset:5408                          // 0000000080D4: D81A1520 0000550D
	v_mfma_f32_16x16x16_bf16 v[236:239], v[118:119], v[148:149], v[236:239]// 0000000080DC: D3E100EC 07B32976
	v_mfma_f32_16x16x16_bf16 v[240:243], v[120:121], v[148:149], v[240:243]// 0000000080E4: D3E100F0 07C32978
	ds_write_b32 v13, v86 offset:4480                          // 0000000080EC: D81A1180 0000560D
	ds_write_b32 v13, v87 offset:5536                          // 0000000080F4: D81A15A0 0000570D
	v_mfma_f32_16x16x16_bf16 v[244:247], v[122:123], v[148:149], v[244:247]// 0000000080FC: D3E100F4 07D3297A
	s_nop 0                                                    // 000000008104: BF800000
	s_nop 0                                                    // 000000008108: BF800000
	s_nop 0                                                    // 00000000810C: BF800000
	s_barrier                                                  // 000000008110: BF8A0000
	v_mfma_f32_16x16x16_bf16 a[160:163], a[144:145], v[72:73], a[160:163]// 000000008114: D3E180A0 0E829190
	ds_read_b32 v124, v21 offset:51200                         // 00000000811C: D86CC800 7C000015
	ds_read_b32 v150, v21 offset:51456                         // 000000008124: D86CC900 96000015
	v_mfma_f32_16x16x16_bf16 a[164:167], a[146:147], v[72:73], a[164:167]// 00000000812C: D3E180A4 0E929192
	buffer_atomic_add_f32 v136, v7, s[32:35], 0 offen          // 000000008134: E1341000 80088807
	v_mfma_f32_16x16x16_bf16 a[168:171], a[148:149], v[72:73], a[168:171]// 00000000813C: D3E180A8 0EA29194
	s_waitcnt lgkmcnt(6)                                       // 000000008144: BF8CC67F
	s_barrier                                                  // 000000008148: BF8A0000
	v_mfma_f32_16x16x16_bf16 a[172:175], a[150:151], v[72:73], a[172:175]// 00000000814C: D3E180AC 0EB29196
	v_mfma_f32_16x16x16_bf16 a[176:179], a[152:153], v[72:73], a[176:179]// 000000008154: D3E180B0 0EC29198
	ds_read_b128 v[48:51], v17 offset:17408                    // 00000000815C: D9FE4400 30000011
	v_mfma_f32_16x16x16_bf16 a[180:183], a[154:155], v[72:73], a[180:183]// 000000008164: D3E180B4 0ED2919A
	v_mfma_f32_16x16x16_bf16 a[184:187], a[156:157], v[72:73], a[184:187]// 00000000816C: D3E180B8 0EE2919C
	ds_read_b128 v[52:55], v17 offset:18560                    // 000000008174: D9FE4880 34000011
	v_mfma_f32_16x16x16_bf16 a[188:191], a[158:159], v[72:73], a[188:191]// 00000000817C: D3E180BC 0EF2919E
	buffer_atomic_add_f32 v137, v8, s[32:35], 0 offen          // 000000008184: E1341000 80088908
	v_mfma_f32_16x16x16_bf16 a[192:195], a[144:145], v[74:75], a[192:195]// 00000000818C: D3E180C0 0F029590
	ds_read_b128 v[56:59], v17 offset:19712                    // 000000008194: D9FE4D00 38000011
	v_mfma_f32_16x16x16_bf16 a[196:199], a[146:147], v[74:75], a[196:199]// 00000000819C: D3E180C4 0F129592
	v_mfma_f32_16x16x16_bf16 a[200:203], a[148:149], v[74:75], a[200:203]// 0000000081A4: D3E180C8 0F229594
	ds_read_b128 v[60:63], v17 offset:20864                    // 0000000081AC: D9FE5180 3C000011
	v_mfma_f32_16x16x16_bf16 a[204:207], a[150:151], v[74:75], a[204:207]// 0000000081B4: D3E180CC 0F329596
	v_mfma_f32_16x16x16_bf16 a[208:211], a[152:153], v[74:75], a[208:211]// 0000000081BC: D3E180D0 0F429598
	ds_read_b128 v[64:67], v17 offset:22016                    // 0000000081C4: D9FE5600 40000011
	v_mfma_f32_16x16x16_bf16 a[212:215], a[154:155], v[74:75], a[212:215]// 0000000081CC: D3E180D4 0F52959A
	buffer_atomic_add_f32 v138, v7, s[32:35], 0 offen offset:128// 0000000081D4: E1341080 80088A07
	v_mfma_f32_16x16x16_bf16 a[216:219], a[156:157], v[74:75], a[216:219]// 0000000081DC: D3E180D8 0F62959C
	ds_read_b128 v[68:71], v17 offset:23168                    // 0000000081E4: D9FE5A80 44000011
	v_mfma_f32_16x16x16_bf16 a[220:223], a[158:159], v[74:75], a[220:223]// 0000000081EC: D3E180DC 0F72959E
	v_mfma_f32_16x16x16_bf16 a[224:227], a[144:145], v[76:77], a[224:227]// 0000000081F4: D3E180E0 0F829990
	ds_write_b32 v13, v88 offset:13056                         // 0000000081FC: D81A3300 0000580D
	v_mfma_f32_16x16x16_bf16 a[228:231], a[146:147], v[76:77], a[228:231]// 000000008204: D3E180E4 0F929992
	v_mfma_f32_16x16x16_bf16 a[232:235], a[148:149], v[76:77], a[232:235]// 00000000820C: D3E180E8 0FA29994
	ds_write_b32 v13, v89 offset:14112                         // 000000008214: D81A3720 0000590D
	v_mfma_f32_16x16x16_bf16 a[236:239], a[150:151], v[76:77], a[236:239]// 00000000821C: D3E180EC 0FB29996
	buffer_atomic_add_f32 v139, v8, s[32:35], 0 offen offset:128// 000000008224: E1341080 80088B08
	v_mfma_f32_16x16x16_bf16 a[240:243], a[152:153], v[76:77], a[240:243]// 00000000822C: D3E180F0 0FC29998
	ds_write_b32 v13, v90 offset:13184                         // 000000008234: D81A3380 00005A0D
	v_mfma_f32_16x16x16_bf16 a[244:247], a[154:155], v[76:77], a[244:247]// 00000000823C: D3E180F4 0FD2999A
	v_mfma_f32_16x16x16_bf16 a[248:251], a[156:157], v[76:77], a[248:251]// 000000008244: D3E180F8 0FE2999C
	ds_write_b32 v13, v91 offset:14240                         // 00000000824C: D81A37A0 00005B0D
	v_mfma_f32_16x16x16_bf16 a[252:255], a[158:159], v[76:77], a[252:255]// 000000008254: D3E180FC 0FF2999E
	s_waitcnt vmcnt(8) lgkmcnt(4)                              // 00000000825C: BF8C0478
	s_barrier                                                  // 000000008260: BF8A0000
	v_mfma_f32_16x16x16_bf16 v[128:131], v[48:49], a[48:49], 0 // 000000008264: D3E10080 12026130
	ds_read_b128 a[144:147], v10                               // 00000000826C: DBFE0000 9000000A
	buffer_load_dword v36, v1, s[8:11], 0 idxen                // 000000008274: E0502000 80022401
	v_mfma_f32_16x16x16_bf16 v[128:131], v[50:51], a[52:53], v[128:131]// 00000000827C: D3E10080 16026932
	v_mul_f32_e32 v124, s48, v124                              // 000000008284: 0AF8F830
	s_nop 0                                                    // 000000008288: BF800000
	v_mfma_f32_16x16x16_bf16 v[128:131], v[52:53], a[56:57], v[128:131]// 00000000828C: D3E10080 16027134
	ds_read_b128 a[148:151], v10 offset:512                    // 000000008294: DBFE0200 9400000A
	buffer_load_dword v37, v2, s[8:11], 0 idxen                // 00000000829C: E0502000 80022502
	v_mfma_f32_16x16x16_bf16 v[128:131], v[54:55], a[60:61], v[128:131]// 0000000082A4: D3E10080 16027936
	v_mfma_f32_16x16x16_bf16 v[128:131], v[56:57], a[64:65], v[128:131]// 0000000082AC: D3E10080 16028138
	ds_read_b128 a[152:155], v10 offset:2176                   // 0000000082B4: DBFE0880 9800000A
	buffer_load_dword v38, v3, s[8:11], 0 idxen                // 0000000082BC: E0502000 80022603
	v_mfma_f32_16x16x16_bf16 v[128:131], v[58:59], a[68:69], v[128:131]// 0000000082C4: D3E10080 1602893A
	v_perm_b32 v84, v33, v32, s63                              // 0000000082CC: D1ED0054 00FE4121
	v_perm_b32 v85, v33, v32, s64                              // 0000000082D4: D1ED0055 01024121
	v_mfma_f32_16x16x16_bf16 v[128:131], v[60:61], a[72:73], v[128:131]// 0000000082DC: D3E10080 1602913C
	ds_read_b128 a[156:159], v10 offset:2688                   // 0000000082E4: DBFE0A80 9C00000A
	buffer_load_dword v39, v4, s[8:11], 0 idxen                // 0000000082EC: E0502000 80022704
	v_mfma_f32_16x16x16_bf16 v[128:131], v[62:63], a[76:77], v[128:131]// 0000000082F4: D3E10080 1602993E
	v_perm_b32 v86, v35, v34, s63                              // 0000000082FC: D1ED0056 00FE4523
	v_perm_b32 v87, v35, v34, s64                              // 000000008304: D1ED0057 01024523
	v_mfma_f32_16x16x16_bf16 v[128:131], v[64:65], a[80:81], v[128:131]// 00000000830C: D3E10080 1602A140
	ds_read_b128 v[92:95], v10 offset:8704                     // 000000008314: D9FE2200 5C00000A
	buffer_load_dword v44, v252, s[20:23], 0 idxen             // 00000000831C: E0502000 80052CFC
	v_mfma_f32_16x16x16_bf16 v[128:131], v[66:67], a[84:85], v[128:131]// 000000008324: D3E10080 1602A942
	v_perm_b32 v88, v41, v40, s63                              // 00000000832C: D1ED0058 00FE5129
	v_perm_b32 v89, v41, v40, s64                              // 000000008334: D1ED0059 01025129
	v_mfma_f32_16x16x16_bf16 v[128:131], v[68:69], a[88:89], v[128:131]// 00000000833C: D3E10080 1602B144
	ds_read_b128 v[96:99], v10 offset:9216                     // 000000008344: D9FE2400 6000000A
	buffer_load_dword v45, v253, s[20:23], 0 idxen             // 00000000834C: E0502000 80052DFD
	v_mfma_f32_16x16x16_bf16 v[128:131], v[70:71], a[92:93], v[128:131]// 000000008354: D3E10080 1602B946
	v_perm_b32 v90, v43, v42, s63                              // 00000000835C: D1ED005A 00FE552B
	v_perm_b32 v91, v43, v42, s64                              // 000000008364: D1ED005B 0102552B
	v_mfma_f32_16x16x16_bf16 v[132:135], v[48:49], a[50:51], 0 // 00000000836C: D3E10084 12026530
	ds_read_b128 v[100:103], v10 offset:10880                  // 000000008374: D9FE2A80 6400000A
	buffer_load_dword v46, v254, s[20:23], 0 idxen             // 00000000837C: E0502000 80052EFE
	v_mfma_f32_16x16x16_bf16 v[132:135], v[50:51], a[54:55], v[132:135]// 000000008384: D3E10084 16126D32
	v_mov_b32_dpp v127, v124 quad_perm:[3,3,3,3] row_mask:0xf bank_mask:0xf// 00000000838C: 7EFE02FA FF00FF7C
	v_mov_b32_dpp v126, v124 quad_perm:[2,2,2,2] row_mask:0xf bank_mask:0xf// 000000008394: 7EFC02FA FF00AA7C
	v_mfma_f32_16x16x16_bf16 v[132:135], v[52:53], a[58:59], v[132:135]// 00000000839C: D3E10084 16127534
	ds_read_b128 v[104:107], v10 offset:11392                  // 0000000083A4: D9FE2C80 6800000A
	buffer_load_dword v47, v255, s[20:23], 0 idxen             // 0000000083AC: E0502000 80052FFF
	v_mfma_f32_16x16x16_bf16 v[132:135], v[54:55], a[62:63], v[132:135]// 0000000083B4: D3E10084 16127D36
	v_mov_b32_dpp v125, v124 quad_perm:[1,1,1,1] row_mask:0xf bank_mask:0xf// 0000000083BC: 7EFA02FA FF00557C
	v_mov_b32_dpp v124, v124 quad_perm:[0,0,0,0] row_mask:0xf bank_mask:0xf// 0000000083C4: 7EF802FA FF00007C
	s_add_u32 s60, 64, s59                                     // 0000000083CC: 803C3BC0
	v_mfma_f32_16x16x16_bf16 v[132:135], v[56:57], a[66:67], v[132:135]// 0000000083D0: D3E10084 16128538
	buffer_load_dword v9, s[24:27], 0 idxen lds                // 0000000083D8: E0512000 80060009
	v_mfma_f32_16x16x16_bf16 v[132:135], v[58:59], a[70:71], v[132:135]// 0000000083E0: D3E10084 16128D3A
	s_cmp_lt_u32 s60, s58                                      // 0000000083E8: BF0A3A3C
	s_cselect_b32 s68, s68, 0                                  // 0000000083EC: 85448044
	s_cselect_b32 s100, s100, 0                                // 0000000083F0: 85648064
	s_cselect_b32 s69, s69, 0                                  // 0000000083F4: 85458045
	v_mfma_f32_16x16x16_bf16 v[132:135], v[60:61], a[74:75], v[132:135]// 0000000083F8: D3E10084 1612953C
	v_add_u32_e32 v1, s68, v1                                  // 000000008400: 68020244
	v_add_u32_e32 v2, s68, v2                                  // 000000008404: 68040444
	;; [unrolled: 1-line block ×3, first 2 shown]
	v_add_u32_e32 v4, s68, v4                                  // 00000000840C: 68080844
	v_mfma_f32_16x16x16_bf16 v[132:135], v[62:63], a[78:79], v[132:135]// 000000008410: D3E10084 16129D3E
	v_add_u32_e32 v252, s100, v252                             // 000000008418: 69F9F864
	v_add_u32_e32 v253, s100, v253                             // 00000000841C: 69FBFA64
	v_add_u32_e32 v254, s100, v254                             // 000000008420: 69FDFC64
	v_add_u32_e32 v255, s100, v255                             // 000000008424: 69FFFE64
	v_mfma_f32_16x16x16_bf16 v[132:135], v[64:65], a[82:83], v[132:135]// 000000008428: D3E10084 1612A540
	s_mov_b32 m0, s80                                          // 000000008430: BEFC0050
	v_add_u32_e32 v9, s69, v9                                  // 000000008434: 68121245
	v_mfma_f32_16x16x16_bf16 v[132:135], v[66:67], a[86:87], v[132:135]// 000000008438: D3E10084 1612AD42
	s_cmp_ge_u32 s59, s73                                      // 000000008440: BF09493B
	s_cselect_b32 s66, s67, s66                                // 000000008444: 85424243
	v_mfma_f32_16x16x16_bf16 v[132:135], v[68:69], a[90:91], v[132:135]// 000000008448: D3E10084 1612B544
	s_addk_i32 s59, 0x10                                       // 000000008450: B73B0010
	s_nop 0                                                    // 000000008454: BF800000
	s_cmp_lt_i32 s59, s58                                      // 000000008458: BF043A3B
	v_mfma_f32_16x16x16_bf16 v[132:135], v[70:71], a[94:95], v[132:135]// 00000000845C: D3E10084 1612BD46
	s_cbranch_scc0 label_0E9C                                  // 000000008464: BF84FCF8
	s_waitcnt lgkmcnt(0)                                       // 000000008468: BF8CC07F
	s_barrier                                                  // 00000000846C: BF8A0000
	v_mfma_f32_16x16x16_bf16 v[48:51], a[144:145], a[0:1], 0   // 000000008470: D3E10030 1A020190
	v_mul_f32_e32 v128, s47, v128                              // 000000008478: 0B01002F
	v_mul_f32_e32 v129, s47, v129                              // 00000000847C: 0B03022F
	v_mfma_f32_16x16x16_bf16 v[48:51], a[146:147], a[2:3], v[48:51]// 000000008480: D3E10030 1CC20592
	ds_write_b32 v11, v40 offset:8704                          // 000000008488: D81A2200 0000280B
	ds_write_b32 v11, v41 offset:9760                          // 000000008490: D81A2620 0000290B
	v_mfma_f32_16x16x16_bf16 v[48:51], a[148:149], a[4:5], v[48:51]// 000000008498: D3E10030 1CC20994
	v_mul_f32_e32 v130, s47, v130                              // 0000000084A0: 0B05042F
	v_mul_f32_e32 v131, s47, v131                              // 0000000084A4: 0B07062F
	v_mfma_f32_16x16x16_bf16 v[48:51], a[150:151], a[6:7], v[48:51]// 0000000084A8: D3E10030 1CC20D96
	ds_write_b32 v11, v42 offset:8832                          // 0000000084B0: D81A2280 00002A0B
	ds_write_b32 v11, v43 offset:9888                          // 0000000084B8: D81A26A0 00002B0B
	v_mfma_f32_16x16x16_bf16 v[48:51], a[152:153], a[8:9], v[48:51]// 0000000084C0: D3E10030 1CC21198
	v_mul_f32_e32 v132, s47, v132                              // 0000000084C8: 0B09082F
	v_mul_f32_e32 v133, s47, v133                              // 0000000084CC: 0B0B0A2F
	v_mfma_f32_16x16x16_bf16 v[48:51], a[154:155], a[10:11], v[48:51]// 0000000084D0: D3E10030 1CC2159A
	ds_write_b64 v20, v[128:129] offset:24320                  // 0000000084D8: D89A5F00 00008014
	v_mfma_f32_16x16x16_bf16 v[48:51], a[156:157], a[12:13], v[48:51]// 0000000084E0: D3E10030 1CC2199C
	v_mul_f32_e32 v134, s47, v134                              // 0000000084E8: 0B0D0C2F
	v_mul_f32_e32 v135, s47, v135                              // 0000000084EC: 0B0F0E2F
	v_mfma_f32_16x16x16_bf16 v[48:51], a[158:159], a[14:15], v[48:51]// 0000000084F0: D3E10030 1CC21D9E
	ds_write_b64 v20, v[130:131] offset:24832                  // 0000000084F8: D89A6100 00008214
	v_mfma_f32_16x16x16_bf16 v[52:55], a[144:145], a[16:17], 0 // 000000008500: D3E10034 1A022190
	buffer_atomic_add_f32 v140, v7, s[32:35], 0 offen offset:256// 000000008508: E1341100 80088C07
	v_mfma_f32_16x16x16_bf16 v[52:55], a[146:147], a[18:19], v[52:55]// 000000008510: D3E10034 1CD22592
	ds_write_b64 v20, v[132:133] offset:25344                  // 000000008518: D89A6300 00008414
	v_mfma_f32_16x16x16_bf16 v[52:55], a[148:149], a[20:21], v[52:55]// 000000008520: D3E10034 1CD22994
	v_mfma_f32_16x16x16_bf16 v[52:55], a[150:151], a[22:23], v[52:55]// 000000008528: D3E10034 1CD22D96
	ds_write_b64 v20, v[134:135] offset:25856                  // 000000008530: D89A6500 00008614
	v_mfma_f32_16x16x16_bf16 v[52:55], a[152:153], a[24:25], v[52:55]// 000000008538: D3E10034 1CD23198
	buffer_atomic_add_f32 v141, v8, s[32:35], 0 offen offset:256// 000000008540: E1341100 80088D08
	v_mfma_f32_16x16x16_bf16 v[52:55], a[154:155], a[26:27], v[52:55]// 000000008548: D3E10034 1CD2359A
	ds_read_b128 v[108:111], v12 offset:13056                  // 000000008550: D9FE3300 6C00000C
	ds_write_b32 v11, v32                                      // 000000008558: D81A0000 0000200B
	v_mfma_f32_16x16x16_bf16 v[52:55], a[156:157], a[28:29], v[52:55]// 000000008560: D3E10034 1CD2399C
	v_mfma_f32_16x16x16_bf16 v[52:55], a[158:159], a[30:31], v[52:55]// 000000008568: D3E10034 1CD23D9E
	v_mfma_f32_16x16x16_bf16 v[56:59], a[144:145], a[32:33], 0 // 000000008570: D3E10038 1A024190
	ds_read_b128 v[112:115], v12 offset:13568                  // 000000008578: D9FE3500 7000000C
	ds_write_b32 v11, v33 offset:1056                          // 000000008580: D81A0420 0000210B
	v_mfma_f32_16x16x16_bf16 v[56:59], a[146:147], a[34:35], v[56:59]// 000000008588: D3E10038 1CE24592
	buffer_atomic_add_f32 v142, v7, s[32:35], 0 offen offset:384// 000000008590: E1341180 80088E07
	v_mfma_f32_16x16x16_bf16 v[56:59], a[148:149], a[36:37], v[56:59]// 000000008598: D3E10038 1CE24994
	v_mfma_f32_16x16x16_bf16 v[56:59], a[150:151], a[38:39], v[56:59]// 0000000085A0: D3E10038 1CE24D96
	ds_read_b128 v[116:119], v12 offset:15232                  // 0000000085A8: D9FE3B80 7400000C
	ds_write_b32 v11, v34 offset:128                           // 0000000085B0: D81A0080 0000220B
	v_mfma_f32_16x16x16_bf16 v[56:59], a[152:153], a[40:41], v[56:59]// 0000000085B8: D3E10038 1CE25198
	v_mfma_f32_16x16x16_bf16 v[56:59], a[154:155], a[42:43], v[56:59]// 0000000085C0: D3E10038 1CE2559A
	buffer_atomic_add_f32 v143, v8, s[32:35], 0 offen offset:384// 0000000085C8: E1341180 80088F08
	v_mfma_f32_16x16x16_bf16 v[56:59], a[156:157], a[44:45], v[56:59]// 0000000085D0: D3E10038 1CE2599C
	ds_read_b128 v[120:123], v12 offset:15744                  // 0000000085D8: D9FE3D80 7800000C
	ds_write_b32 v11, v35 offset:1184                          // 0000000085E0: D81A04A0 0000230B
	v_mfma_f32_16x16x16_bf16 v[56:59], a[158:159], a[46:47], v[56:59]// 0000000085E8: D3E10038 1CE25D9E
	s_cmp_lt_i32 s74, 12                                       // 0000000085F0: BF048C4A
	s_cbranch_scc0 label_1282                                  // 0000000085F4: BF840075
	s_mov_b32 s60, 0xffe0fffe                                  // 0000000085F8: BEBC00FF FFE0FFFE
	s_mov_b32 s61, 0xe000fe00                                  // 000000008600: BEBD00FF E000FE00
	s_nop 0                                                    // 000000008608: BF800000
	s_add_u32 s62, 0, s46                                      // 00000000860C: 803E2E80
	s_cmp_lt_i32 s74, s62                                      // 000000008610: BF043E4A
	s_cbranch_scc1 label_123D                                  // 000000008614: BF850028
	s_cmp_eq_i32 s74, s62                                      // 000000008618: BF003E4A
	s_cbranch_scc1 label_1222                                  // 00000000861C: BF85000B
	s_add_u32 s62, 4, s46                                      // 000000008620: 803E2E84
	s_cmp_lt_i32 s74, s62                                      // 000000008624: BF043E4A
	s_cbranch_scc1 label_125D                                  // 000000008628: BF850043
	s_cmp_eq_i32 s74, s62                                      // 00000000862C: BF003E4A
	s_cbranch_scc1 label_1242                                  // 000000008630: BF850026
	s_add_u32 s62, 8, s46                                      // 000000008634: 803E2E88
	s_cmp_lt_i32 s74, s62                                      // 000000008638: BF043E4A
	s_cbranch_scc1 label_127D                                  // 00000000863C: BF85005E
	s_cmp_eq_i32 s74, s62                                      // 000000008640: BF003E4A
	s_cbranch_scc1 label_1262                                  // 000000008644: BF850041
	s_branch label_1282                                        // 000000008648: BF820060

000000000000864c <label_1222>:
	v_cndmask_b32_e64 v48, v48, v151, s[60:61]                 // 00000000864C: D1000030 00F32F30
	s_lshl_b32 s60, s60, 1                                     // 000000008654: 8E3C813C
	s_lshl_b32 s61, s61, 1                                     // 000000008658: 8E3D813D
	s_and_b32 s60, 0xfffeffff, s60                             // 00000000865C: 863C3CFF FFFEFFFF
	s_and_b32 s61, 0xfffeffff, s61                             // 000000008664: 863D3DFF FFFEFFFF
	v_cndmask_b32_e64 v49, v49, v151, s[60:61]                 // 00000000866C: D1000031 00F32F31
	s_lshl_b32 s60, s60, 1                                     // 000000008674: 8E3C813C
	s_lshl_b32 s61, s61, 1                                     // 000000008678: 8E3D813D
	s_and_b32 s60, 0xfffeffff, s60                             // 00000000867C: 863C3CFF FFFEFFFF
	s_and_b32 s61, 0xfffeffff, s61                             // 000000008684: 863D3DFF FFFEFFFF
	v_cndmask_b32_e64 v50, v50, v151, s[60:61]                 // 00000000868C: D1000032 00F32F32
	s_lshl_b32 s60, s60, 1                                     // 000000008694: 8E3C813C
	s_lshl_b32 s61, s61, 1                                     // 000000008698: 8E3D813D
	s_and_b32 s60, 0xfffeffff, s60                             // 00000000869C: 863C3CFF FFFEFFFF
	s_and_b32 s61, 0xfffeffff, s61                             // 0000000086A4: 863D3DFF FFFEFFFF
	v_cndmask_b32_e64 v51, v51, v151, s[60:61]                 // 0000000086AC: D1000033 00F32F33
	s_branch label_125D                                        // 0000000086B4: BF820020

00000000000086b8 <label_123D>:
	v_mov_b32_e32 v48, v151                                    // 0000000086B8: 7E600397
	v_mov_b32_e32 v49, v151                                    // 0000000086BC: 7E620397
	v_mov_b32_e32 v50, v151                                    // 0000000086C0: 7E640397
	v_mov_b32_e32 v51, v151                                    // 0000000086C4: 7E660397
	s_branch label_125D                                        // 0000000086C8: BF82001B

00000000000086cc <label_1242>:
	v_cndmask_b32_e64 v52, v52, v151, s[60:61]                 // 0000000086CC: D1000034 00F32F34
	s_lshl_b32 s60, s60, 1                                     // 0000000086D4: 8E3C813C
	s_lshl_b32 s61, s61, 1                                     // 0000000086D8: 8E3D813D
	s_and_b32 s60, 0xfffeffff, s60                             // 0000000086DC: 863C3CFF FFFEFFFF
	s_and_b32 s61, 0xfffeffff, s61                             // 0000000086E4: 863D3DFF FFFEFFFF
	v_cndmask_b32_e64 v53, v53, v151, s[60:61]                 // 0000000086EC: D1000035 00F32F35
	s_lshl_b32 s60, s60, 1                                     // 0000000086F4: 8E3C813C
	s_lshl_b32 s61, s61, 1                                     // 0000000086F8: 8E3D813D
	s_and_b32 s60, 0xfffeffff, s60                             // 0000000086FC: 863C3CFF FFFEFFFF
	s_and_b32 s61, 0xfffeffff, s61                             // 000000008704: 863D3DFF FFFEFFFF
	v_cndmask_b32_e64 v54, v54, v151, s[60:61]                 // 00000000870C: D1000036 00F32F36
	s_lshl_b32 s60, s60, 1                                     // 000000008714: 8E3C813C
	s_lshl_b32 s61, s61, 1                                     // 000000008718: 8E3D813D
	s_and_b32 s60, 0xfffeffff, s60                             // 00000000871C: 863C3CFF FFFEFFFF
	s_and_b32 s61, 0xfffeffff, s61                             // 000000008724: 863D3DFF FFFEFFFF
	v_cndmask_b32_e64 v55, v55, v151, s[60:61]                 // 00000000872C: D1000037 00F32F37
	s_branch label_127D                                        // 000000008734: BF820020

0000000000008738 <label_125D>:
	v_mov_b32_e32 v52, v151                                    // 000000008738: 7E680397
	v_mov_b32_e32 v53, v151                                    // 00000000873C: 7E6A0397
	v_mov_b32_e32 v54, v151                                    // 000000008740: 7E6C0397
	v_mov_b32_e32 v55, v151                                    // 000000008744: 7E6E0397
	s_branch label_127D                                        // 000000008748: BF82001B

000000000000874c <label_1262>:
	v_cndmask_b32_e64 v56, v56, v151, s[60:61]                 // 00000000874C: D1000038 00F32F38
	s_lshl_b32 s60, s60, 1                                     // 000000008754: 8E3C813C
	s_lshl_b32 s61, s61, 1                                     // 000000008758: 8E3D813D
	s_and_b32 s60, 0xfffeffff, s60                             // 00000000875C: 863C3CFF FFFEFFFF
	s_and_b32 s61, 0xfffeffff, s61                             // 000000008764: 863D3DFF FFFEFFFF
	v_cndmask_b32_e64 v57, v57, v151, s[60:61]                 // 00000000876C: D1000039 00F32F39
	s_lshl_b32 s60, s60, 1                                     // 000000008774: 8E3C813C
	s_lshl_b32 s61, s61, 1                                     // 000000008778: 8E3D813D
	s_and_b32 s60, 0xfffeffff, s60                             // 00000000877C: 863C3CFF FFFEFFFF
	s_and_b32 s61, 0xfffeffff, s61                             // 000000008784: 863D3DFF FFFEFFFF
	v_cndmask_b32_e64 v58, v58, v151, s[60:61]                 // 00000000878C: D100003A 00F32F3A
	s_lshl_b32 s60, s60, 1                                     // 000000008794: 8E3C813C
	s_lshl_b32 s61, s61, 1                                     // 000000008798: 8E3D813D
	s_and_b32 s60, 0xfffeffff, s60                             // 00000000879C: 863C3CFF FFFEFFFF
	s_and_b32 s61, 0xfffeffff, s61                             // 0000000087A4: 863D3DFF FFFEFFFF
	v_cndmask_b32_e64 v59, v59, v151, s[60:61]                 // 0000000087AC: D100003B 00F32F3B
	s_branch label_1282                                        // 0000000087B4: BF820005

00000000000087b8 <label_127D>:
	v_mov_b32_e32 v56, v151                                    // 0000000087B8: 7E700397
	v_mov_b32_e32 v57, v151                                    // 0000000087BC: 7E720397
	v_mov_b32_e32 v58, v151                                    // 0000000087C0: 7E740397
	v_mov_b32_e32 v59, v151                                    // 0000000087C4: 7E760397
	s_branch label_1282                                        // 0000000087C8: BF820000

00000000000087cc <label_1282>:
	s_cmp_lt_i32 s84, 0xc0                                     // 0000000087CC: BF04FF54 000000C0
	s_cbranch_scc0 label_12D7                                  // 0000000087D4: BF84004D
	s_cmp_le_i32 s84, 64                                       // 0000000087D8: BF05C054
	s_cbranch_scc1 label_128E                                  // 0000000087DC: BF850007
	s_cmp_le_i32 s84, 0x80                                     // 0000000087E0: BF05FF54 00000080
	s_cbranch_scc1 label_12A6                                  // 0000000087E8: BF850017
	s_cmp_lt_i32 s84, 0xc0                                     // 0000000087EC: BF04FF54 000000C0
	s_cbranch_scc1 label_12BE                                  // 0000000087F4: BF85002C
	s_branch label_12D7                                        // 0000000087F8: BF820044

00000000000087fc <label_128E>:
	s_mov_b32 s60, 0                                           // 0000000087FC: BEBC0080
	v_and_b32_e32 v28, 15, v0                                  // 000000008800: 2638008F
	v_add_u32_e64 v28, v28, s60                                // 000000008804: D134001C 0000791C
	v_mul_i32_i24_e64 v29, s46, 16                             // 00000000880C: D106001D 0001202E
	v_add_u32_e32 v28, v28, v29                                // 000000008814: 68383B1C
	v_cmp_lt_u32_e64 s[60:61], v28, s84                        // 000000008818: D0C9003C 0000A91C
	s_nop 1                                                    // 000000008820: BF800001
	v_cndmask_b32_e64 v48, v151, v48, s[60:61]                 // 000000008824: D1000030 00F26197
	v_cndmask_b32_e64 v49, v151, v49, s[60:61]                 // 00000000882C: D1000031 00F26397
	v_cndmask_b32_e64 v50, v151, v50, s[60:61]                 // 000000008834: D1000032 00F26597
	v_cndmask_b32_e64 v51, v151, v51, s[60:61]                 // 00000000883C: D1000033 00F26797
	s_branch label_12B9                                        // 000000008844: BF820013

0000000000008848 <label_12A6>:
	s_mov_b32 s60, 64                                          // 000000008848: BEBC00C0
	v_and_b32_e32 v28, 15, v0                                  // 00000000884C: 2638008F
	v_add_u32_e64 v28, v28, s60                                // 000000008850: D134001C 0000791C
	v_mul_i32_i24_e64 v29, s46, 16                             // 000000008858: D106001D 0001202E
	v_add_u32_e32 v28, v28, v29                                // 000000008860: 68383B1C
	v_cmp_lt_u32_e64 s[60:61], v28, s84                        // 000000008864: D0C9003C 0000A91C
	s_nop 1                                                    // 00000000886C: BF800001
	v_cndmask_b32_e64 v52, v151, v52, s[60:61]                 // 000000008870: D1000034 00F26997
	v_cndmask_b32_e64 v53, v151, v53, s[60:61]                 // 000000008878: D1000035 00F26B97
	v_cndmask_b32_e64 v54, v151, v54, s[60:61]                 // 000000008880: D1000036 00F26D97
	v_cndmask_b32_e64 v55, v151, v55, s[60:61]                 // 000000008888: D1000037 00F26F97
	s_branch label_12D2                                        // 000000008890: BF820019

0000000000008894 <label_12B9>:
	v_mov_b32_e32 v52, v151                                    // 000000008894: 7E680397
	v_mov_b32_e32 v53, v151                                    // 000000008898: 7E6A0397
	v_mov_b32_e32 v54, v151                                    // 00000000889C: 7E6C0397
	v_mov_b32_e32 v55, v151                                    // 0000000088A0: 7E6E0397
	s_branch label_12D2                                        // 0000000088A4: BF820014

00000000000088a8 <label_12BE>:
	s_mov_b32 s60, 0x80                                        // 0000000088A8: BEBC00FF 00000080
	v_and_b32_e32 v28, 15, v0                                  // 0000000088B0: 2638008F
	v_add_u32_e64 v28, v28, s60                                // 0000000088B4: D134001C 0000791C
	v_mul_i32_i24_e64 v29, s46, 16                             // 0000000088BC: D106001D 0001202E
	v_add_u32_e32 v28, v28, v29                                // 0000000088C4: 68383B1C
	v_cmp_lt_u32_e64 s[60:61], v28, s84                        // 0000000088C8: D0C9003C 0000A91C
	s_nop 1                                                    // 0000000088D0: BF800001
	v_cndmask_b32_e64 v56, v151, v56, s[60:61]                 // 0000000088D4: D1000038 00F27197
	v_cndmask_b32_e64 v57, v151, v57, s[60:61]                 // 0000000088DC: D1000039 00F27397
	v_cndmask_b32_e64 v58, v151, v58, s[60:61]                 // 0000000088E4: D100003A 00F27597
	v_cndmask_b32_e64 v59, v151, v59, s[60:61]                 // 0000000088EC: D100003B 00F27797
	s_branch label_12D7                                        // 0000000088F4: BF820005

00000000000088f8 <label_12D2>:
	v_mov_b32_e32 v56, v151                                    // 0000000088F8: 7E700397
	v_mov_b32_e32 v57, v151                                    // 0000000088FC: 7E720397
	v_mov_b32_e32 v58, v151                                    // 000000008900: 7E740397
	v_mov_b32_e32 v59, v151                                    // 000000008904: 7E760397
	s_branch label_12D7                                        // 000000008908: BF820000

000000000000890c <label_12D7>:
	s_addk_i32 s74, 0x1                                        // 00000000890C: B74A0001
	s_waitcnt lgkmcnt(8)                                       // 000000008910: BF8CC87F
	s_barrier                                                  // 000000008914: BF8A0000
	v_mfma_f32_16x16x16_bf16 v[72:75], v[92:93], a[96:97], 0   // 000000008918: D3E10048 1202C15C
	v_fma_f32 v48, v48, s57, -v124                             // 000000008920: D1CB0030 85F07330
	v_fma_f32 v49, v49, s57, -v125                             // 000000008928: D1CB0031 85F47331
	v_fma_f32 v50, v50, s57, -v126                             // 000000008930: D1CB0032 85F87332
	v_mfma_f32_16x16x16_bf16 v[72:75], v[94:95], a[98:99], v[72:75]// 000000008938: D3E10048 1522C55E
	ds_read_b128 a[144:147], v12 offset:4352                   // 000000008940: DBFE1100 9000000C
	ds_read_b128 a[148:151], v12 offset:4864                   // 000000008948: DBFE1300 9400000C
	v_mfma_f32_16x16x16_bf16 v[72:75], v[96:97], a[100:101], v[72:75]// 000000008950: D3E10048 1522C960
	v_fma_f32 v51, v51, s57, -v127                             // 000000008958: D1CB0033 85FC7333
	v_fma_f32 v52, v52, s57, -v124                             // 000000008960: D1CB0034 85F07334
	v_fma_f32 v53, v53, s57, -v125                             // 000000008968: D1CB0035 85F47335
	v_mfma_f32_16x16x16_bf16 v[72:75], v[98:99], a[102:103], v[72:75]// 000000008970: D3E10048 1522CD62
	v_fma_f32 v54, v54, s57, -v126                             // 000000008978: D1CB0036 85F87336
	v_fma_f32 v55, v55, s57, -v127                             // 000000008980: D1CB0037 85FC7337
	v_fma_f32 v56, v56, s57, -v124                             // 000000008988: D1CB0038 85F07338
	v_mfma_f32_16x16x16_bf16 v[72:75], v[100:101], a[104:105], v[72:75]// 000000008990: D3E10048 1522D164
	v_fma_f32 v57, v57, s57, -v125                             // 000000008998: D1CB0039 85F47339
	v_fma_f32 v58, v58, s57, -v126                             // 0000000089A0: D1CB003A 85F8733A
	v_fma_f32 v59, v59, s57, -v127                             // 0000000089A8: D1CB003B 85FC733B
	v_mfma_f32_16x16x16_bf16 v[72:75], v[102:103], a[106:107], v[72:75]// 0000000089B0: D3E10048 1522D566
	ds_read_b128 a[152:155], v12 offset:6528                   // 0000000089B8: DBFE1980 9800000C
	ds_read_b128 a[156:159], v12 offset:7040                   // 0000000089C0: DBFE1B80 9C00000C
	v_mfma_f32_16x16x16_bf16 v[72:75], v[104:105], a[108:109], v[72:75]// 0000000089C8: D3E10048 1522D968
	v_exp_f32_e32 v48, v48                                     // 0000000089D0: 7E604130
	v_mfma_f32_16x16x16_bf16 v[72:75], v[106:107], a[110:111], v[72:75]// 0000000089D4: D3E10048 1522DD6A
	v_exp_f32_e32 v49, v49                                     // 0000000089DC: 7E624131
	v_mfma_f32_16x16x16_bf16 v[76:79], v[92:93], a[112:113], 0 // 0000000089E0: D3E1004C 1202E15C
	v_exp_f32_e32 v50, v50                                     // 0000000089E8: 7E644132
	v_mfma_f32_16x16x16_bf16 v[76:79], v[94:95], a[114:115], v[76:79]// 0000000089EC: D3E1004C 1532E55E
	ds_read_b64 v[136:137], v19 offset:24320                   // 0000000089F4: D8EC5F00 88000013
	ds_read_b64 v[138:139], v19 offset:26368                   // 0000000089FC: D8EC6700 8A000013
	v_mfma_f32_16x16x16_bf16 v[76:79], v[96:97], a[116:117], v[76:79]// 000000008A04: D3E1004C 1532E960
	v_exp_f32_e32 v51, v51                                     // 000000008A0C: 7E664133
	v_mfma_f32_16x16x16_bf16 v[76:79], v[98:99], a[118:119], v[76:79]// 000000008A10: D3E1004C 1532ED62
	ds_read_b64 v[140:141], v19 offset:28416                   // 000000008A18: D8EC6F00 8C000013
	ds_read_b64 v[142:143], v19 offset:30464                   // 000000008A20: D8EC7700 8E000013
	v_mfma_f32_16x16x16_bf16 v[76:79], v[100:101], a[120:121], v[76:79]// 000000008A28: D3E1004C 1532F164
	v_exp_f32_e32 v52, v52                                     // 000000008A30: 7E684134
	v_mfma_f32_16x16x16_bf16 v[76:79], v[102:103], a[122:123], v[76:79]// 000000008A34: D3E1004C 1532F566
	v_exp_f32_e32 v53, v53                                     // 000000008A3C: 7E6A4135
	v_mfma_f32_16x16x16_bf16 v[76:79], v[104:105], a[124:125], v[76:79]// 000000008A40: D3E1004C 1532F968
	v_exp_f32_e32 v54, v54                                     // 000000008A48: 7E6C4136
	v_mfma_f32_16x16x16_bf16 v[76:79], v[106:107], a[126:127], v[76:79]// 000000008A4C: D3E1004C 1532FD6A
	v_exp_f32_e32 v55, v55                                     // 000000008A54: 7E6E4137
	v_mfma_f32_16x16x16_bf16 v[80:83], v[92:93], a[128:129], 0 // 000000008A58: D3E10050 1203015C
	v_exp_f32_e32 v56, v56                                     // 000000008A60: 7E704138
	v_mfma_f32_16x16x16_bf16 v[80:83], v[94:95], a[130:131], v[80:83]// 000000008A64: D3E10050 1543055E
	v_exp_f32_e32 v57, v57                                     // 000000008A6C: 7E724139
	v_mfma_f32_16x16x16_bf16 v[80:83], v[96:97], a[132:133], v[80:83]// 000000008A70: D3E10050 15430960
	v_exp_f32_e32 v58, v58                                     // 000000008A78: 7E74413A
	v_mfma_f32_16x16x16_bf16 v[80:83], v[98:99], a[134:135], v[80:83]// 000000008A7C: D3E10050 15430D62
	v_exp_f32_e32 v59, v59                                     // 000000008A84: 7E76413B
	v_mfma_f32_16x16x16_bf16 v[80:83], v[100:101], a[136:137], v[80:83]// 000000008A88: D3E10050 15431164
	v_perm_b32 v144, v49, v48, s64                             // 000000008A90: D1ED0090 01026131
	v_perm_b32 v145, v51, v50, s64                             // 000000008A98: D1ED0091 01026533
	v_perm_b32 v146, v53, v52, s64                             // 000000008AA0: D1ED0092 01026935
	v_mfma_f32_16x16x16_bf16 v[80:83], v[102:103], a[138:139], v[80:83]// 000000008AA8: D3E10050 15431566
	v_perm_b32 v147, v55, v54, s64                             // 000000008AB0: D1ED0093 01026D37
	v_perm_b32 v148, v57, v56, s64                             // 000000008AB8: D1ED0094 01027139
	v_perm_b32 v149, v59, v58, s64                             // 000000008AC0: D1ED0095 0102753B
	v_mfma_f32_16x16x16_bf16 v[80:83], v[104:105], a[140:141], v[80:83]// 000000008AC8: D3E10050 15431968
	v_add_u32_e32 v7, s66, v7                                  // 000000008AD0: 680E0E42
	v_add_u32_e32 v8, s66, v8                                  // 000000008AD4: 68101042
	v_mfma_f32_16x16x16_bf16 v[80:83], v[106:107], a[142:143], v[80:83]// 000000008AD8: D3E10050 15431D6A
	s_waitcnt lgkmcnt(0)                                       // 000000008AE0: BF8CC07F
	s_barrier                                                  // 000000008AE4: BF8A0000
	v_mfma_f32_16x16x16_bf16 v[152:155], v[108:109], v[144:145], v[152:155]// 000000008AE8: D3E10098 0663216C
	v_subrev_f32_dpp v72, v150, v72 quad_perm:[0,0,0,0] row_mask:0xf bank_mask:0xf// 000000008AF0: 069090FA FF000096
	v_subrev_f32_dpp v73, v150, v73 quad_perm:[1,1,1,1] row_mask:0xf bank_mask:0xf// 000000008AF8: 069292FA FF005596
	v_subrev_f32_dpp v74, v150, v74 quad_perm:[2,2,2,2] row_mask:0xf bank_mask:0xf// 000000008B00: 069494FA FF00AA96
	v_mfma_f32_16x16x16_bf16 v[156:159], v[110:111], v[144:145], v[156:159]// 000000008B08: D3E1009C 0673216E
	v_subrev_f32_dpp v75, v150, v75 quad_perm:[3,3,3,3] row_mask:0xf bank_mask:0xf// 000000008B10: 069696FA FF00FF96
	v_subrev_f32_dpp v76, v150, v76 quad_perm:[0,0,0,0] row_mask:0xf bank_mask:0xf// 000000008B18: 069898FA FF000096
	v_subrev_f32_dpp v77, v150, v77 quad_perm:[1,1,1,1] row_mask:0xf bank_mask:0xf// 000000008B20: 069A9AFA FF005596
	v_mfma_f32_16x16x16_bf16 v[160:163], v[112:113], v[144:145], v[160:163]// 000000008B28: D3E100A0 06832170
	v_mul_f32_e32 v72, v48, v72                                // 000000008B30: 0A909130
	v_mul_f32_e32 v73, v49, v73                                // 000000008B34: 0A929331
	v_mul_f32_e32 v74, v50, v74                                // 000000008B38: 0A949532
	v_mfma_f32_16x16x16_bf16 v[164:167], v[114:115], v[144:145], v[164:167]// 000000008B3C: D3E100A4 06932172
	v_mul_f32_e32 v75, v51, v75                                // 000000008B44: 0A969733
	v_mul_f32_e32 v76, v52, v76                                // 000000008B48: 0A989934
	v_mul_f32_e32 v77, v53, v77                                // 000000008B4C: 0A9A9B35
	v_mfma_f32_16x16x16_bf16 v[168:171], v[116:117], v[144:145], v[168:171]// 000000008B50: D3E100A8 06A32174
	v_perm_b32 v72, v73, v72, s64                              // 000000008B58: D1ED0048 01029149
	v_perm_b32 v73, v75, v74, s64                              // 000000008B60: D1ED0049 0102954B
	v_perm_b32 v74, v77, v76, s64                              // 000000008B68: D1ED004A 0102994D
	v_mfma_f32_16x16x16_bf16 v[172:175], v[118:119], v[144:145], v[172:175]// 000000008B70: D3E100AC 06B32176
	v_mov_b32_dpp v16, v72 quad_perm:[1,0,3,2] row_mask:0xf bank_mask:0xf// 000000008B78: 7E2002FA FF00B148
	v_perm_b32 v48, v16, v72, v15                              // 000000008B80: D1ED0030 043E9110
	v_mov_b32_dpp v16, v73 quad_perm:[1,0,3,2] row_mask:0xf bank_mask:0xf// 000000008B88: 7E2002FA FF00B149
	v_mfma_f32_16x16x16_bf16 v[176:179], v[120:121], v[144:145], v[176:179]// 000000008B90: D3E100B0 06C32178
	ds_write_b32 v18, v48 offset:17408                         // 000000008B98: D81A4400 00003012
	v_mfma_f32_16x16x16_bf16 v[180:183], v[122:123], v[144:145], v[180:183]// 000000008BA0: D3E100B4 06D3217A
	v_perm_b32 v49, v16, v73, v15                              // 000000008BA8: D1ED0031 043E9310
	v_mov_b32_dpp v16, v74 quad_perm:[1,0,3,2] row_mask:0xf bank_mask:0xf// 000000008BB0: 7E2002FA FF00B14A
	v_perm_b32 v50, v16, v74, v15                              // 000000008BB8: D1ED0032 043E9510
	v_mfma_f32_16x16x16_bf16 v[184:187], v[108:109], v[146:147], v[184:187]// 000000008BC0: D3E100B8 06E3256C
	ds_write_b32 v18, v49 offset:17952                         // 000000008BC8: D81A4620 00003112
	v_mfma_f32_16x16x16_bf16 v[188:191], v[110:111], v[146:147], v[188:191]// 000000008BD0: D3E100BC 06F3256E
	v_subrev_f32_dpp v78, v150, v78 quad_perm:[2,2,2,2] row_mask:0xf bank_mask:0xf// 000000008BD8: 069C9CFA FF00AA96
	v_subrev_f32_dpp v79, v150, v79 quad_perm:[3,3,3,3] row_mask:0xf bank_mask:0xf// 000000008BE0: 069E9EFA FF00FF96
	v_subrev_f32_dpp v80, v150, v80 quad_perm:[0,0,0,0] row_mask:0xf bank_mask:0xf// 000000008BE8: 06A0A0FA FF000096
	v_mfma_f32_16x16x16_bf16 v[192:195], v[112:113], v[146:147], v[192:195]// 000000008BF0: D3E100C0 07032570
	ds_write_b32 v18, v50 offset:19712                         // 000000008BF8: D81A4D00 00003212
	v_mfma_f32_16x16x16_bf16 v[196:199], v[114:115], v[146:147], v[196:199]// 000000008C00: D3E100C4 07132572
	v_subrev_f32_dpp v81, v150, v81 quad_perm:[1,1,1,1] row_mask:0xf bank_mask:0xf// 000000008C08: 06A2A2FA FF005596
	v_subrev_f32_dpp v82, v150, v82 quad_perm:[2,2,2,2] row_mask:0xf bank_mask:0xf// 000000008C10: 06A4A4FA FF00AA96
	v_subrev_f32_dpp v83, v150, v83 quad_perm:[3,3,3,3] row_mask:0xf bank_mask:0xf// 000000008C18: 06A6A6FA FF00FF96
	v_mfma_f32_16x16x16_bf16 v[200:203], v[116:117], v[146:147], v[200:203]// 000000008C20: D3E100C8 07232574
	v_mul_f32_e32 v78, v54, v78                                // 000000008C28: 0A9C9D36
	v_mul_f32_e32 v79, v55, v79                                // 000000008C2C: 0A9E9F37
	v_mul_f32_e32 v80, v56, v80                                // 000000008C30: 0AA0A138
	v_mfma_f32_16x16x16_bf16 v[204:207], v[118:119], v[146:147], v[204:207]// 000000008C34: D3E100CC 07332576
	v_mul_f32_e32 v81, v57, v81                                // 000000008C3C: 0AA2A339
	v_mul_f32_e32 v82, v58, v82                                // 000000008C40: 0AA4A53A
	v_mul_f32_e32 v83, v59, v83                                // 000000008C44: 0AA6A73B
	v_mfma_f32_16x16x16_bf16 v[208:211], v[120:121], v[146:147], v[208:211]// 000000008C48: D3E100D0 07432578
	v_perm_b32 v75, v79, v78, s64                              // 000000008C50: D1ED004B 01029D4F
	v_perm_b32 v76, v81, v80, s64                              // 000000008C58: D1ED004C 0102A151
	v_perm_b32 v77, v83, v82, s64                              // 000000008C60: D1ED004D 0102A553
	v_mfma_f32_16x16x16_bf16 v[212:215], v[122:123], v[146:147], v[212:215]// 000000008C68: D3E100D4 0753257A
	v_mov_b32_dpp v16, v75 quad_perm:[1,0,3,2] row_mask:0xf bank_mask:0xf// 000000008C70: 7E2002FA FF00B14B
	v_perm_b32 v51, v16, v75, v15                              // 000000008C78: D1ED0033 043E9710
	v_mov_b32_dpp v16, v76 quad_perm:[1,0,3,2] row_mask:0xf bank_mask:0xf// 000000008C80: 7E2002FA FF00B14C
	v_mfma_f32_16x16x16_bf16 v[216:219], v[108:109], v[148:149], v[216:219]// 000000008C88: D3E100D8 0763296C
	ds_write_b32 v18, v51 offset:20256                         // 000000008C90: D81A4F20 00003312
	v_mfma_f32_16x16x16_bf16 v[220:223], v[110:111], v[148:149], v[220:223]// 000000008C98: D3E100DC 0773296E
	v_perm_b32 v52, v16, v76, v15                              // 000000008CA0: D1ED0034 043E9910
	v_mov_b32_dpp v16, v77 quad_perm:[1,0,3,2] row_mask:0xf bank_mask:0xf// 000000008CA8: 7E2002FA FF00B14D
	v_perm_b32 v53, v16, v77, v15                              // 000000008CB0: D1ED0035 043E9B10
	v_mfma_f32_16x16x16_bf16 v[224:227], v[112:113], v[148:149], v[224:227]// 000000008CB8: D3E100E0 07832970
	ds_write_b32 v18, v52 offset:22016                         // 000000008CC0: D81A5600 00003412
	ds_write_b32 v18, v53 offset:22560                         // 000000008CC8: D81A5820 00003512
	v_mfma_f32_16x16x16_bf16 v[228:231], v[114:115], v[148:149], v[228:231]// 000000008CD0: D3E100E4 07932972
	v_mfma_f32_16x16x16_bf16 v[232:235], v[116:117], v[148:149], v[232:235]// 000000008CD8: D3E100E8 07A32974
	ds_write_b32 v13, v84 offset:4352                          // 000000008CE0: D81A1100 0000540D
	ds_write_b32 v13, v85 offset:5408                          // 000000008CE8: D81A1520 0000550D
	v_mfma_f32_16x16x16_bf16 v[236:239], v[118:119], v[148:149], v[236:239]// 000000008CF0: D3E100EC 07B32976
	v_mfma_f32_16x16x16_bf16 v[240:243], v[120:121], v[148:149], v[240:243]// 000000008CF8: D3E100F0 07C32978
	ds_write_b32 v13, v86 offset:4480                          // 000000008D00: D81A1180 0000560D
	ds_write_b32 v13, v87 offset:5536                          // 000000008D08: D81A15A0 0000570D
	v_mfma_f32_16x16x16_bf16 v[244:247], v[122:123], v[148:149], v[244:247]// 000000008D10: D3E100F4 07D3297A
	s_nop 0                                                    // 000000008D18: BF800000
	s_nop 0                                                    // 000000008D1C: BF800000
	s_nop 0                                                    // 000000008D20: BF800000
	s_barrier                                                  // 000000008D24: BF8A0000
	v_mfma_f32_16x16x16_bf16 a[160:163], a[144:145], v[72:73], a[160:163]// 000000008D28: D3E180A0 0E829190
	ds_read_b32 v124, v21 offset:50688                         // 000000008D30: D86CC600 7C000015
	ds_read_b32 v150, v21 offset:50944                         // 000000008D38: D86CC700 96000015
	v_mfma_f32_16x16x16_bf16 a[164:167], a[146:147], v[72:73], a[164:167]// 000000008D40: D3E180A4 0E929192
	buffer_atomic_add_f32 v136, v7, s[32:35], 0 offen          // 000000008D48: E1341000 80088807
	v_mfma_f32_16x16x16_bf16 a[168:171], a[148:149], v[72:73], a[168:171]// 000000008D50: D3E180A8 0EA29194
	s_waitcnt lgkmcnt(6)                                       // 000000008D58: BF8CC67F
	s_barrier                                                  // 000000008D5C: BF8A0000
	v_mfma_f32_16x16x16_bf16 a[172:175], a[150:151], v[72:73], a[172:175]// 000000008D60: D3E180AC 0EB29196
	v_mfma_f32_16x16x16_bf16 a[176:179], a[152:153], v[72:73], a[176:179]// 000000008D68: D3E180B0 0EC29198
	ds_read_b128 v[48:51], v17 offset:17408                    // 000000008D70: D9FE4400 30000011
	v_mfma_f32_16x16x16_bf16 a[180:183], a[154:155], v[72:73], a[180:183]// 000000008D78: D3E180B4 0ED2919A
	v_mfma_f32_16x16x16_bf16 a[184:187], a[156:157], v[72:73], a[184:187]// 000000008D80: D3E180B8 0EE2919C
	ds_read_b128 v[52:55], v17 offset:18560                    // 000000008D88: D9FE4880 34000011
	v_mfma_f32_16x16x16_bf16 a[188:191], a[158:159], v[72:73], a[188:191]// 000000008D90: D3E180BC 0EF2919E
	buffer_atomic_add_f32 v137, v8, s[32:35], 0 offen          // 000000008D98: E1341000 80088908
	v_mfma_f32_16x16x16_bf16 a[192:195], a[144:145], v[74:75], a[192:195]// 000000008DA0: D3E180C0 0F029590
	ds_read_b128 v[56:59], v17 offset:19712                    // 000000008DA8: D9FE4D00 38000011
	v_mfma_f32_16x16x16_bf16 a[196:199], a[146:147], v[74:75], a[196:199]// 000000008DB0: D3E180C4 0F129592
	v_mfma_f32_16x16x16_bf16 a[200:203], a[148:149], v[74:75], a[200:203]// 000000008DB8: D3E180C8 0F229594
	ds_read_b128 v[60:63], v17 offset:20864                    // 000000008DC0: D9FE5180 3C000011
	v_mfma_f32_16x16x16_bf16 a[204:207], a[150:151], v[74:75], a[204:207]// 000000008DC8: D3E180CC 0F329596
	v_mfma_f32_16x16x16_bf16 a[208:211], a[152:153], v[74:75], a[208:211]// 000000008DD0: D3E180D0 0F429598
	ds_read_b128 v[64:67], v17 offset:22016                    // 000000008DD8: D9FE5600 40000011
	v_mfma_f32_16x16x16_bf16 a[212:215], a[154:155], v[74:75], a[212:215]// 000000008DE0: D3E180D4 0F52959A
	buffer_atomic_add_f32 v138, v7, s[32:35], 0 offen offset:128// 000000008DE8: E1341080 80088A07
	v_mfma_f32_16x16x16_bf16 a[216:219], a[156:157], v[74:75], a[216:219]// 000000008DF0: D3E180D8 0F62959C
	ds_read_b128 v[68:71], v17 offset:23168                    // 000000008DF8: D9FE5A80 44000011
	v_mfma_f32_16x16x16_bf16 a[220:223], a[158:159], v[74:75], a[220:223]// 000000008E00: D3E180DC 0F72959E
	v_mfma_f32_16x16x16_bf16 a[224:227], a[144:145], v[76:77], a[224:227]// 000000008E08: D3E180E0 0F829990
	ds_write_b32 v13, v88 offset:13056                         // 000000008E10: D81A3300 0000580D
	v_mfma_f32_16x16x16_bf16 a[228:231], a[146:147], v[76:77], a[228:231]// 000000008E18: D3E180E4 0F929992
	v_mfma_f32_16x16x16_bf16 a[232:235], a[148:149], v[76:77], a[232:235]// 000000008E20: D3E180E8 0FA29994
	ds_write_b32 v13, v89 offset:14112                         // 000000008E28: D81A3720 0000590D
	v_mfma_f32_16x16x16_bf16 a[236:239], a[150:151], v[76:77], a[236:239]// 000000008E30: D3E180EC 0FB29996
	buffer_atomic_add_f32 v139, v8, s[32:35], 0 offen offset:128// 000000008E38: E1341080 80088B08
	v_mfma_f32_16x16x16_bf16 a[240:243], a[152:153], v[76:77], a[240:243]// 000000008E40: D3E180F0 0FC29998
	ds_write_b32 v13, v90 offset:13184                         // 000000008E48: D81A3380 00005A0D
	v_mfma_f32_16x16x16_bf16 a[244:247], a[154:155], v[76:77], a[244:247]// 000000008E50: D3E180F4 0FD2999A
	v_mfma_f32_16x16x16_bf16 a[248:251], a[156:157], v[76:77], a[248:251]// 000000008E58: D3E180F8 0FE2999C
	ds_write_b32 v13, v91 offset:14240                         // 000000008E60: D81A37A0 00005B0D
	v_mfma_f32_16x16x16_bf16 a[252:255], a[158:159], v[76:77], a[252:255]// 000000008E68: D3E180FC 0FF2999E
	s_waitcnt vmcnt(8) lgkmcnt(4)                              // 000000008E70: BF8C0478
	s_barrier                                                  // 000000008E74: BF8A0000
	v_mfma_f32_16x16x16_bf16 v[128:131], v[48:49], a[48:49], 0 // 000000008E78: D3E10080 12026130
	ds_read_b128 a[144:147], v10                               // 000000008E80: DBFE0000 9000000A
	buffer_load_dword v32, v1, s[8:11], 0 idxen                // 000000008E88: E0502000 80022001
	v_mfma_f32_16x16x16_bf16 v[128:131], v[50:51], a[52:53], v[128:131]// 000000008E90: D3E10080 16026932
	v_mul_f32_e32 v124, s48, v124                              // 000000008E98: 0AF8F830
	s_nop 0                                                    // 000000008E9C: BF800000
	v_mfma_f32_16x16x16_bf16 v[128:131], v[52:53], a[56:57], v[128:131]// 000000008EA0: D3E10080 16027134
	ds_read_b128 a[148:151], v10 offset:512                    // 000000008EA8: DBFE0200 9400000A
	buffer_load_dword v33, v2, s[8:11], 0 idxen                // 000000008EB0: E0502000 80022102
	v_mfma_f32_16x16x16_bf16 v[128:131], v[54:55], a[60:61], v[128:131]// 000000008EB8: D3E10080 16027936
	v_mfma_f32_16x16x16_bf16 v[128:131], v[56:57], a[64:65], v[128:131]// 000000008EC0: D3E10080 16028138
	ds_read_b128 a[152:155], v10 offset:2176                   // 000000008EC8: DBFE0880 9800000A
	buffer_load_dword v34, v3, s[8:11], 0 idxen                // 000000008ED0: E0502000 80022203
	v_mfma_f32_16x16x16_bf16 v[128:131], v[58:59], a[68:69], v[128:131]// 000000008ED8: D3E10080 1602893A
	v_perm_b32 v84, v37, v36, s63                              // 000000008EE0: D1ED0054 00FE4925
	v_perm_b32 v85, v37, v36, s64                              // 000000008EE8: D1ED0055 01024925
	v_mfma_f32_16x16x16_bf16 v[128:131], v[60:61], a[72:73], v[128:131]// 000000008EF0: D3E10080 1602913C
	ds_read_b128 a[156:159], v10 offset:2688                   // 000000008EF8: DBFE0A80 9C00000A
	buffer_load_dword v35, v4, s[8:11], 0 idxen                // 000000008F00: E0502000 80022304
	v_mfma_f32_16x16x16_bf16 v[128:131], v[62:63], a[76:77], v[128:131]// 000000008F08: D3E10080 1602993E
	v_perm_b32 v86, v39, v38, s63                              // 000000008F10: D1ED0056 00FE4D27
	v_perm_b32 v87, v39, v38, s64                              // 000000008F18: D1ED0057 01024D27
	v_mfma_f32_16x16x16_bf16 v[128:131], v[64:65], a[80:81], v[128:131]// 000000008F20: D3E10080 1602A140
	ds_read_b128 v[92:95], v10 offset:8704                     // 000000008F28: D9FE2200 5C00000A
	buffer_load_dword v40, v252, s[20:23], 0 idxen             // 000000008F30: E0502000 800528FC
	v_mfma_f32_16x16x16_bf16 v[128:131], v[66:67], a[84:85], v[128:131]// 000000008F38: D3E10080 1602A942
	v_perm_b32 v88, v45, v44, s63                              // 000000008F40: D1ED0058 00FE592D
	v_perm_b32 v89, v45, v44, s64                              // 000000008F48: D1ED0059 0102592D
	v_mfma_f32_16x16x16_bf16 v[128:131], v[68:69], a[88:89], v[128:131]// 000000008F50: D3E10080 1602B144
	ds_read_b128 v[96:99], v10 offset:9216                     // 000000008F58: D9FE2400 6000000A
	buffer_load_dword v41, v253, s[20:23], 0 idxen             // 000000008F60: E0502000 800529FD
	v_mfma_f32_16x16x16_bf16 v[128:131], v[70:71], a[92:93], v[128:131]// 000000008F68: D3E10080 1602B946
	v_perm_b32 v90, v47, v46, s63                              // 000000008F70: D1ED005A 00FE5D2F
	v_perm_b32 v91, v47, v46, s64                              // 000000008F78: D1ED005B 01025D2F
	v_mfma_f32_16x16x16_bf16 v[132:135], v[48:49], a[50:51], 0 // 000000008F80: D3E10084 12026530
	ds_read_b128 v[100:103], v10 offset:10880                  // 000000008F88: D9FE2A80 6400000A
	buffer_load_dword v42, v254, s[20:23], 0 idxen             // 000000008F90: E0502000 80052AFE
	v_mfma_f32_16x16x16_bf16 v[132:135], v[50:51], a[54:55], v[132:135]// 000000008F98: D3E10084 16126D32
	v_mov_b32_dpp v127, v124 quad_perm:[3,3,3,3] row_mask:0xf bank_mask:0xf// 000000008FA0: 7EFE02FA FF00FF7C
	v_mov_b32_dpp v126, v124 quad_perm:[2,2,2,2] row_mask:0xf bank_mask:0xf// 000000008FA8: 7EFC02FA FF00AA7C
	v_mfma_f32_16x16x16_bf16 v[132:135], v[52:53], a[58:59], v[132:135]// 000000008FB0: D3E10084 16127534
	ds_read_b128 v[104:107], v10 offset:11392                  // 000000008FB8: D9FE2C80 6800000A
	buffer_load_dword v43, v255, s[20:23], 0 idxen             // 000000008FC0: E0502000 80052BFF
	v_mfma_f32_16x16x16_bf16 v[132:135], v[54:55], a[62:63], v[132:135]// 000000008FC8: D3E10084 16127D36
	v_mov_b32_dpp v125, v124 quad_perm:[1,1,1,1] row_mask:0xf bank_mask:0xf// 000000008FD0: 7EFA02FA FF00557C
	v_mov_b32_dpp v124, v124 quad_perm:[0,0,0,0] row_mask:0xf bank_mask:0xf// 000000008FD8: 7EF802FA FF00007C
	s_add_u32 s60, 64, s59                                     // 000000008FE0: 803C3BC0
	v_mfma_f32_16x16x16_bf16 v[132:135], v[56:57], a[66:67], v[132:135]// 000000008FE4: D3E10084 16128538
	buffer_load_dword v9, s[24:27], 0 idxen lds                // 000000008FEC: E0512000 80060009
	v_mfma_f32_16x16x16_bf16 v[132:135], v[58:59], a[70:71], v[132:135]// 000000008FF4: D3E10084 16128D3A
	s_cmp_lt_u32 s60, s58                                      // 000000008FFC: BF0A3A3C
	s_cselect_b32 s68, s68, 0                                  // 000000009000: 85448044
	s_cselect_b32 s100, s100, 0                                // 000000009004: 85648064
	s_cselect_b32 s69, s69, 0                                  // 000000009008: 85458045
	v_mfma_f32_16x16x16_bf16 v[132:135], v[60:61], a[74:75], v[132:135]// 00000000900C: D3E10084 1612953C
	v_add_u32_e32 v1, s68, v1                                  // 000000009014: 68020244
	v_add_u32_e32 v2, s68, v2                                  // 000000009018: 68040444
	v_add_u32_e32 v3, s68, v3                                  // 00000000901C: 68060644
	v_add_u32_e32 v4, s68, v4                                  // 000000009020: 68080844
	v_mfma_f32_16x16x16_bf16 v[132:135], v[62:63], a[78:79], v[132:135]// 000000009024: D3E10084 16129D3E
	v_add_u32_e32 v252, s100, v252                             // 00000000902C: 69F9F864
	v_add_u32_e32 v253, s100, v253                             // 000000009030: 69FBFA64
	v_add_u32_e32 v254, s100, v254                             // 000000009034: 69FDFC64
	v_add_u32_e32 v255, s100, v255                             // 000000009038: 69FFFE64
	v_mfma_f32_16x16x16_bf16 v[132:135], v[64:65], a[82:83], v[132:135]// 00000000903C: D3E10084 1612A540
	s_mov_b32 m0, s81                                          // 000000009044: BEFC0051
	v_add_u32_e32 v9, s69, v9                                  // 000000009048: 68121245
	v_mfma_f32_16x16x16_bf16 v[132:135], v[66:67], a[86:87], v[132:135]// 00000000904C: D3E10084 1612AD42
	s_cmp_ge_u32 s59, s73                                      // 000000009054: BF09493B
	s_cselect_b32 s66, s67, s66                                // 000000009058: 85424243
	v_mfma_f32_16x16x16_bf16 v[132:135], v[68:69], a[90:91], v[132:135]// 00000000905C: D3E10084 1612B544
	s_addk_i32 s59, 0x10                                       // 000000009064: B73B0010
	s_nop 0                                                    // 000000009068: BF800000
	s_cmp_lt_i32 s59, s58                                      // 00000000906C: BF043A3B
	v_mfma_f32_16x16x16_bf16 v[132:135], v[70:71], a[94:95], v[132:135]// 000000009070: D3E10084 1612BD46
	s_cbranch_scc0 label_0E9C                                  // 000000009078: BF84F9F3
	s_branch label_0E9F                                        // 00000000907C: BF82F9F5

0000000000009080 <label_14B4>:
	buffer_atomic_add_f32 v140, v7, s[32:35], 0 offen offset:256// 000000009080: E1341100 80088C07
	buffer_atomic_add_f32 v141, v8, s[32:35], 0 offen offset:256// 000000009088: E1341100 80088D08
	buffer_atomic_add_f32 v142, v7, s[32:35], 0 offen offset:384// 000000009090: E1341180 80088E07
	buffer_atomic_add_f32 v143, v8, s[32:35], 0 offen offset:384// 000000009098: E1341180 80088F08
	v_add_u32_e32 v7, s66, v7                                  // 0000000090A0: 680E0E42
	v_add_u32_e32 v8, s66, v8                                  // 0000000090A4: 68101042
	v_lshrrev_b32_e32 v28, 5, v0                               // 0000000090A8: 20380085
	v_mul_i32_i24_e32 v25, 0x42, v28                           // 0000000090AC: 0C3238FF 00000042
	v_and_b32_e32 v28, 31, v0                                  // 0000000090B4: 2638009F
	v_mul_i32_i24_e32 v29, 2, v28                              // 0000000090B8: 0C3A3882
	v_add_u32_e32 v25, v29, v25                                // 0000000090BC: 6832331D
	s_mul_i32 s60, s46, 0x420                                  // 0000000090C0: 923CFF2E 00000420
	v_add_u32_e32 v25, s60, v25                                // 0000000090C8: 6832323C
	v_lshlrev_b32_e32 v25, 2, v25                              // 0000000090CC: 24323282
	v_mul_f32_e32 v128, s47, v128                              // 0000000090D0: 0B01002F
	v_mul_f32_e32 v129, s47, v129                              // 0000000090D4: 0B03022F
	v_mul_f32_e32 v130, s47, v130                              // 0000000090D8: 0B05042F
	v_mul_f32_e32 v131, s47, v131                              // 0000000090DC: 0B07062F
	v_mul_f32_e32 v132, s47, v132                              // 0000000090E0: 0B09082F
	v_mul_f32_e32 v133, s47, v133                              // 0000000090E4: 0B0B0A2F
	v_mul_f32_e32 v134, s47, v134                              // 0000000090E8: 0B0D0C2F
	v_mul_f32_e32 v135, s47, v135                              // 0000000090EC: 0B0F0E2F
	ds_write_b64 v20, v[128:129] offset:24320                  // 0000000090F0: D89A5F00 00008014
	ds_write_b64 v20, v[130:131] offset:24832                  // 0000000090F8: D89A6100 00008214
	ds_write_b64 v20, v[132:133] offset:25344                  // 000000009100: D89A6300 00008414
	ds_write_b64 v20, v[134:135] offset:25856                  // 000000009108: D89A6500 00008614
	s_waitcnt lgkmcnt(0)                                       // 000000009110: BF8CC07F
	s_barrier                                                  // 000000009114: BF8A0000
	ds_read_b64 v[136:137], v19 offset:24320                   // 000000009118: D8EC5F00 88000013
	ds_read_b64 v[138:139], v19 offset:26368                   // 000000009120: D8EC6700 8A000013
	ds_read_b64 v[140:141], v19 offset:28416                   // 000000009128: D8EC6F00 8C000013
	ds_read_b64 v[142:143], v19 offset:30464                   // 000000009130: D8EC7700 8E000013
	s_waitcnt lgkmcnt(0)                                       // 000000009138: BF8CC07F
	s_barrier                                                  // 00000000913C: BF8A0000
	buffer_atomic_add_f32 v136, v7, s[32:35], 0 offen          // 000000009140: E1341000 80088807
	buffer_atomic_add_f32 v137, v8, s[32:35], 0 offen          // 000000009148: E1341000 80088908
	buffer_atomic_add_f32 v138, v7, s[32:35], 0 offen offset:128// 000000009150: E1341080 80088A07
	buffer_atomic_add_f32 v139, v8, s[32:35], 0 offen offset:128// 000000009158: E1341080 80088B08
	buffer_atomic_add_f32 v140, v7, s[32:35], 0 offen offset:256// 000000009160: E1341100 80088C07
	buffer_atomic_add_f32 v141, v8, s[32:35], 0 offen offset:256// 000000009168: E1341100 80088D08
	buffer_atomic_add_f32 v142, v7, s[32:35], 0 offen offset:384// 000000009170: E1341180 80088E07
	buffer_atomic_add_f32 v143, v8, s[32:35], 0 offen offset:384// 000000009178: E1341180 80088F08
	v_lshrrev_b32_e32 v28, 4, v0                               // 000000009180: 20380084
	v_mul_i32_i24_e32 v24, 2, v28                              // 000000009184: 0C303882
	v_and_b32_e32 v28, 15, v0                                  // 000000009188: 2638008F
	v_mul_i32_i24_e32 v29, 0x42, v28                           // 00000000918C: 0C3A38FF 00000042
	v_add_u32_e32 v24, v29, v24                                // 000000009194: 6830311D
	s_mul_i32 s60, s46, 0x420                                  // 000000009198: 923CFF2E 00000420
	v_add_u32_e32 v24, s60, v24                                // 0000000091A0: 6830303C
	v_lshlrev_b32_e32 v24, 2, v24                              // 0000000091A4: 24303082
	v_accvgpr_read_b32 v30, a160                               // 0000000091A8: D3D8401E 180001A0
	v_accvgpr_read_b32 v31, a161                               // 0000000091B0: D3D8401F 180001A1
	v_mul_f32_e32 v30, s47, v30                                // 0000000091B8: 0A3C3C2F
	v_mul_f32_e32 v31, s47, v31                                // 0000000091BC: 0A3E3E2F
	v_cmp_u_f32_e64 s[78:79], v30, v30                         // 0000000091C0: D048004E 00023D1E
	v_bfe_u32 v248, v30, 16, 1                                 // 0000000091C8: D1C800F8 0205211E
	v_add3_u32 v248, v30, v248, v251                           // 0000000091D0: D1FF00F8 07EFF11E
	v_cndmask_b32_e64 v28, v248, v250, s[78:79]                // 0000000091D8: D100001C 013BF5F8
	v_lshrrev_b32_e32 v28, 16, v28                             // 0000000091E0: 20383890
	v_cmp_u_f32_e64 s[78:79], v31, v31                         // 0000000091E4: D048004E 00023F1F
	v_bfe_u32 v248, v31, 16, 1                                 // 0000000091EC: D1C800F8 0205211F
	v_add3_u32 v248, v31, v248, v251                           // 0000000091F4: D1FF00F8 07EFF11F
	v_cndmask_b32_e64 v29, v248, v250, s[78:79]                // 0000000091FC: D100001D 013BF5F8
	v_and_or_b32 v48, v29, v249, v28                           // 000000009204: D2010030 0473F31D
	v_accvgpr_read_b32 v30, a162                               // 00000000920C: D3D8401E 180001A2
	v_accvgpr_read_b32 v31, a163                               // 000000009214: D3D8401F 180001A3
	v_mul_f32_e32 v30, s47, v30                                // 00000000921C: 0A3C3C2F
	v_mul_f32_e32 v31, s47, v31                                // 000000009220: 0A3E3E2F
	v_cmp_u_f32_e64 s[78:79], v30, v30                         // 000000009224: D048004E 00023D1E
	v_bfe_u32 v248, v30, 16, 1                                 // 00000000922C: D1C800F8 0205211E
	v_add3_u32 v248, v30, v248, v251                           // 000000009234: D1FF00F8 07EFF11E
	v_cndmask_b32_e64 v28, v248, v250, s[78:79]                // 00000000923C: D100001C 013BF5F8
	v_lshrrev_b32_e32 v28, 16, v28                             // 000000009244: 20383890
	v_cmp_u_f32_e64 s[78:79], v31, v31                         // 000000009248: D048004E 00023F1F
	v_bfe_u32 v248, v31, 16, 1                                 // 000000009250: D1C800F8 0205211F
	v_add3_u32 v248, v31, v248, v251                           // 000000009258: D1FF00F8 07EFF11F
	v_cndmask_b32_e64 v29, v248, v250, s[78:79]                // 000000009260: D100001D 013BF5F8
	v_and_or_b32 v49, v29, v249, v28                           // 000000009268: D2010031 0473F31D
	v_accvgpr_read_b32 v30, a164                               // 000000009270: D3D8401E 180001A4
	v_accvgpr_read_b32 v31, a165                               // 000000009278: D3D8401F 180001A5
	v_mul_f32_e32 v30, s47, v30                                // 000000009280: 0A3C3C2F
	v_mul_f32_e32 v31, s47, v31                                // 000000009284: 0A3E3E2F
	v_cmp_u_f32_e64 s[78:79], v30, v30                         // 000000009288: D048004E 00023D1E
	v_bfe_u32 v248, v30, 16, 1                                 // 000000009290: D1C800F8 0205211E
	v_add3_u32 v248, v30, v248, v251                           // 000000009298: D1FF00F8 07EFF11E
	v_cndmask_b32_e64 v28, v248, v250, s[78:79]                // 0000000092A0: D100001C 013BF5F8
	v_lshrrev_b32_e32 v28, 16, v28                             // 0000000092A8: 20383890
	v_cmp_u_f32_e64 s[78:79], v31, v31                         // 0000000092AC: D048004E 00023F1F
	v_bfe_u32 v248, v31, 16, 1                                 // 0000000092B4: D1C800F8 0205211F
	v_add3_u32 v248, v31, v248, v251                           // 0000000092BC: D1FF00F8 07EFF11F
	v_cndmask_b32_e64 v29, v248, v250, s[78:79]                // 0000000092C4: D100001D 013BF5F8
	v_and_or_b32 v50, v29, v249, v28                           // 0000000092CC: D2010032 0473F31D
	v_accvgpr_read_b32 v30, a166                               // 0000000092D4: D3D8401E 180001A6
	v_accvgpr_read_b32 v31, a167                               // 0000000092DC: D3D8401F 180001A7
	v_mul_f32_e32 v30, s47, v30                                // 0000000092E4: 0A3C3C2F
	v_mul_f32_e32 v31, s47, v31                                // 0000000092E8: 0A3E3E2F
	v_cmp_u_f32_e64 s[78:79], v30, v30                         // 0000000092EC: D048004E 00023D1E
	v_bfe_u32 v248, v30, 16, 1                                 // 0000000092F4: D1C800F8 0205211E
	v_add3_u32 v248, v30, v248, v251                           // 0000000092FC: D1FF00F8 07EFF11E
	v_cndmask_b32_e64 v28, v248, v250, s[78:79]                // 000000009304: D100001C 013BF5F8
	v_lshrrev_b32_e32 v28, 16, v28                             // 00000000930C: 20383890
	v_cmp_u_f32_e64 s[78:79], v31, v31                         // 000000009310: D048004E 00023F1F
	v_bfe_u32 v248, v31, 16, 1                                 // 000000009318: D1C800F8 0205211F
	v_add3_u32 v248, v31, v248, v251                           // 000000009320: D1FF00F8 07EFF11F
	v_cndmask_b32_e64 v29, v248, v250, s[78:79]                // 000000009328: D100001D 013BF5F8
	v_and_or_b32 v51, v29, v249, v28                           // 000000009330: D2010033 0473F31D
	v_accvgpr_read_b32 v30, a168                               // 000000009338: D3D8401E 180001A8
	v_accvgpr_read_b32 v31, a169                               // 000000009340: D3D8401F 180001A9
	v_mul_f32_e32 v30, s47, v30                                // 000000009348: 0A3C3C2F
	v_mul_f32_e32 v31, s47, v31                                // 00000000934C: 0A3E3E2F
	v_cmp_u_f32_e64 s[78:79], v30, v30                         // 000000009350: D048004E 00023D1E
	v_bfe_u32 v248, v30, 16, 1                                 // 000000009358: D1C800F8 0205211E
	v_add3_u32 v248, v30, v248, v251                           // 000000009360: D1FF00F8 07EFF11E
	v_cndmask_b32_e64 v28, v248, v250, s[78:79]                // 000000009368: D100001C 013BF5F8
	v_lshrrev_b32_e32 v28, 16, v28                             // 000000009370: 20383890
	v_cmp_u_f32_e64 s[78:79], v31, v31                         // 000000009374: D048004E 00023F1F
	v_bfe_u32 v248, v31, 16, 1                                 // 00000000937C: D1C800F8 0205211F
	v_add3_u32 v248, v31, v248, v251                           // 000000009384: D1FF00F8 07EFF11F
	v_cndmask_b32_e64 v29, v248, v250, s[78:79]                // 00000000938C: D100001D 013BF5F8
	v_and_or_b32 v52, v29, v249, v28                           // 000000009394: D2010034 0473F31D
	v_accvgpr_read_b32 v30, a170                               // 00000000939C: D3D8401E 180001AA
	v_accvgpr_read_b32 v31, a171                               // 0000000093A4: D3D8401F 180001AB
	v_mul_f32_e32 v30, s47, v30                                // 0000000093AC: 0A3C3C2F
	v_mul_f32_e32 v31, s47, v31                                // 0000000093B0: 0A3E3E2F
	v_cmp_u_f32_e64 s[78:79], v30, v30                         // 0000000093B4: D048004E 00023D1E
	v_bfe_u32 v248, v30, 16, 1                                 // 0000000093BC: D1C800F8 0205211E
	v_add3_u32 v248, v30, v248, v251                           // 0000000093C4: D1FF00F8 07EFF11E
	v_cndmask_b32_e64 v28, v248, v250, s[78:79]                // 0000000093CC: D100001C 013BF5F8
	v_lshrrev_b32_e32 v28, 16, v28                             // 0000000093D4: 20383890
	v_cmp_u_f32_e64 s[78:79], v31, v31                         // 0000000093D8: D048004E 00023F1F
	v_bfe_u32 v248, v31, 16, 1                                 // 0000000093E0: D1C800F8 0205211F
	v_add3_u32 v248, v31, v248, v251                           // 0000000093E8: D1FF00F8 07EFF11F
	v_cndmask_b32_e64 v29, v248, v250, s[78:79]                // 0000000093F0: D100001D 013BF5F8
	v_and_or_b32 v53, v29, v249, v28                           // 0000000093F8: D2010035 0473F31D
	v_accvgpr_read_b32 v30, a172                               // 000000009400: D3D8401E 180001AC
	v_accvgpr_read_b32 v31, a173                               // 000000009408: D3D8401F 180001AD
	v_mul_f32_e32 v30, s47, v30                                // 000000009410: 0A3C3C2F
	v_mul_f32_e32 v31, s47, v31                                // 000000009414: 0A3E3E2F
	v_cmp_u_f32_e64 s[78:79], v30, v30                         // 000000009418: D048004E 00023D1E
	v_bfe_u32 v248, v30, 16, 1                                 // 000000009420: D1C800F8 0205211E
	v_add3_u32 v248, v30, v248, v251                           // 000000009428: D1FF00F8 07EFF11E
	v_cndmask_b32_e64 v28, v248, v250, s[78:79]                // 000000009430: D100001C 013BF5F8
	v_lshrrev_b32_e32 v28, 16, v28                             // 000000009438: 20383890
	v_cmp_u_f32_e64 s[78:79], v31, v31                         // 00000000943C: D048004E 00023F1F
	v_bfe_u32 v248, v31, 16, 1                                 // 000000009444: D1C800F8 0205211F
	v_add3_u32 v248, v31, v248, v251                           // 00000000944C: D1FF00F8 07EFF11F
	v_cndmask_b32_e64 v29, v248, v250, s[78:79]                // 000000009454: D100001D 013BF5F8
	v_and_or_b32 v54, v29, v249, v28                           // 00000000945C: D2010036 0473F31D
	v_accvgpr_read_b32 v30, a174                               // 000000009464: D3D8401E 180001AE
	v_accvgpr_read_b32 v31, a175                               // 00000000946C: D3D8401F 180001AF
	v_mul_f32_e32 v30, s47, v30                                // 000000009474: 0A3C3C2F
	v_mul_f32_e32 v31, s47, v31                                // 000000009478: 0A3E3E2F
	v_cmp_u_f32_e64 s[78:79], v30, v30                         // 00000000947C: D048004E 00023D1E
	v_bfe_u32 v248, v30, 16, 1                                 // 000000009484: D1C800F8 0205211E
	v_add3_u32 v248, v30, v248, v251                           // 00000000948C: D1FF00F8 07EFF11E
	v_cndmask_b32_e64 v28, v248, v250, s[78:79]                // 000000009494: D100001C 013BF5F8
	v_lshrrev_b32_e32 v28, 16, v28                             // 00000000949C: 20383890
	v_cmp_u_f32_e64 s[78:79], v31, v31                         // 0000000094A0: D048004E 00023F1F
	v_bfe_u32 v248, v31, 16, 1                                 // 0000000094A8: D1C800F8 0205211F
	v_add3_u32 v248, v31, v248, v251                           // 0000000094B0: D1FF00F8 07EFF11F
	v_cndmask_b32_e64 v29, v248, v250, s[78:79]                // 0000000094B8: D100001D 013BF5F8
	v_and_or_b32 v55, v29, v249, v28                           // 0000000094C0: D2010037 0473F31D
	v_accvgpr_read_b32 v30, a176                               // 0000000094C8: D3D8401E 180001B0
	v_accvgpr_read_b32 v31, a177                               // 0000000094D0: D3D8401F 180001B1
	v_mul_f32_e32 v30, s47, v30                                // 0000000094D8: 0A3C3C2F
	v_mul_f32_e32 v31, s47, v31                                // 0000000094DC: 0A3E3E2F
	v_cmp_u_f32_e64 s[78:79], v30, v30                         // 0000000094E0: D048004E 00023D1E
	v_bfe_u32 v248, v30, 16, 1                                 // 0000000094E8: D1C800F8 0205211E
	v_add3_u32 v248, v30, v248, v251                           // 0000000094F0: D1FF00F8 07EFF11E
	v_cndmask_b32_e64 v28, v248, v250, s[78:79]                // 0000000094F8: D100001C 013BF5F8
	v_lshrrev_b32_e32 v28, 16, v28                             // 000000009500: 20383890
	v_cmp_u_f32_e64 s[78:79], v31, v31                         // 000000009504: D048004E 00023F1F
	v_bfe_u32 v248, v31, 16, 1                                 // 00000000950C: D1C800F8 0205211F
	v_add3_u32 v248, v31, v248, v251                           // 000000009514: D1FF00F8 07EFF11F
	v_cndmask_b32_e64 v29, v248, v250, s[78:79]                // 00000000951C: D100001D 013BF5F8
	v_and_or_b32 v56, v29, v249, v28                           // 000000009524: D2010038 0473F31D
	v_accvgpr_read_b32 v30, a178                               // 00000000952C: D3D8401E 180001B2
	v_accvgpr_read_b32 v31, a179                               // 000000009534: D3D8401F 180001B3
	v_mul_f32_e32 v30, s47, v30                                // 00000000953C: 0A3C3C2F
	v_mul_f32_e32 v31, s47, v31                                // 000000009540: 0A3E3E2F
	v_cmp_u_f32_e64 s[78:79], v30, v30                         // 000000009544: D048004E 00023D1E
	v_bfe_u32 v248, v30, 16, 1                                 // 00000000954C: D1C800F8 0205211E
	v_add3_u32 v248, v30, v248, v251                           // 000000009554: D1FF00F8 07EFF11E
	v_cndmask_b32_e64 v28, v248, v250, s[78:79]                // 00000000955C: D100001C 013BF5F8
	v_lshrrev_b32_e32 v28, 16, v28                             // 000000009564: 20383890
	v_cmp_u_f32_e64 s[78:79], v31, v31                         // 000000009568: D048004E 00023F1F
	v_bfe_u32 v248, v31, 16, 1                                 // 000000009570: D1C800F8 0205211F
	v_add3_u32 v248, v31, v248, v251                           // 000000009578: D1FF00F8 07EFF11F
	v_cndmask_b32_e64 v29, v248, v250, s[78:79]                // 000000009580: D100001D 013BF5F8
	v_and_or_b32 v57, v29, v249, v28                           // 000000009588: D2010039 0473F31D
	v_accvgpr_read_b32 v30, a180                               // 000000009590: D3D8401E 180001B4
	v_accvgpr_read_b32 v31, a181                               // 000000009598: D3D8401F 180001B5
	v_mul_f32_e32 v30, s47, v30                                // 0000000095A0: 0A3C3C2F
	v_mul_f32_e32 v31, s47, v31                                // 0000000095A4: 0A3E3E2F
	v_cmp_u_f32_e64 s[78:79], v30, v30                         // 0000000095A8: D048004E 00023D1E
	v_bfe_u32 v248, v30, 16, 1                                 // 0000000095B0: D1C800F8 0205211E
	v_add3_u32 v248, v30, v248, v251                           // 0000000095B8: D1FF00F8 07EFF11E
	v_cndmask_b32_e64 v28, v248, v250, s[78:79]                // 0000000095C0: D100001C 013BF5F8
	v_lshrrev_b32_e32 v28, 16, v28                             // 0000000095C8: 20383890
	v_cmp_u_f32_e64 s[78:79], v31, v31                         // 0000000095CC: D048004E 00023F1F
	v_bfe_u32 v248, v31, 16, 1                                 // 0000000095D4: D1C800F8 0205211F
	v_add3_u32 v248, v31, v248, v251                           // 0000000095DC: D1FF00F8 07EFF11F
	v_cndmask_b32_e64 v29, v248, v250, s[78:79]                // 0000000095E4: D100001D 013BF5F8
	v_and_or_b32 v58, v29, v249, v28                           // 0000000095EC: D201003A 0473F31D
	v_accvgpr_read_b32 v30, a182                               // 0000000095F4: D3D8401E 180001B6
	v_accvgpr_read_b32 v31, a183                               // 0000000095FC: D3D8401F 180001B7
	v_mul_f32_e32 v30, s47, v30                                // 000000009604: 0A3C3C2F
	v_mul_f32_e32 v31, s47, v31                                // 000000009608: 0A3E3E2F
	v_cmp_u_f32_e64 s[78:79], v30, v30                         // 00000000960C: D048004E 00023D1E
	v_bfe_u32 v248, v30, 16, 1                                 // 000000009614: D1C800F8 0205211E
	v_add3_u32 v248, v30, v248, v251                           // 00000000961C: D1FF00F8 07EFF11E
	v_cndmask_b32_e64 v28, v248, v250, s[78:79]                // 000000009624: D100001C 013BF5F8
	v_lshrrev_b32_e32 v28, 16, v28                             // 00000000962C: 20383890
	v_cmp_u_f32_e64 s[78:79], v31, v31                         // 000000009630: D048004E 00023F1F
	v_bfe_u32 v248, v31, 16, 1                                 // 000000009638: D1C800F8 0205211F
	v_add3_u32 v248, v31, v248, v251                           // 000000009640: D1FF00F8 07EFF11F
	v_cndmask_b32_e64 v29, v248, v250, s[78:79]                // 000000009648: D100001D 013BF5F8
	v_and_or_b32 v59, v29, v249, v28                           // 000000009650: D201003B 0473F31D
	v_accvgpr_read_b32 v30, a184                               // 000000009658: D3D8401E 180001B8
	v_accvgpr_read_b32 v31, a185                               // 000000009660: D3D8401F 180001B9
	v_mul_f32_e32 v30, s47, v30                                // 000000009668: 0A3C3C2F
	v_mul_f32_e32 v31, s47, v31                                // 00000000966C: 0A3E3E2F
	v_cmp_u_f32_e64 s[78:79], v30, v30                         // 000000009670: D048004E 00023D1E
	v_bfe_u32 v248, v30, 16, 1                                 // 000000009678: D1C800F8 0205211E
	v_add3_u32 v248, v30, v248, v251                           // 000000009680: D1FF00F8 07EFF11E
	v_cndmask_b32_e64 v28, v248, v250, s[78:79]                // 000000009688: D100001C 013BF5F8
	v_lshrrev_b32_e32 v28, 16, v28                             // 000000009690: 20383890
	v_cmp_u_f32_e64 s[78:79], v31, v31                         // 000000009694: D048004E 00023F1F
	v_bfe_u32 v248, v31, 16, 1                                 // 00000000969C: D1C800F8 0205211F
	v_add3_u32 v248, v31, v248, v251                           // 0000000096A4: D1FF00F8 07EFF11F
	v_cndmask_b32_e64 v29, v248, v250, s[78:79]                // 0000000096AC: D100001D 013BF5F8
	v_and_or_b32 v60, v29, v249, v28                           // 0000000096B4: D201003C 0473F31D
	v_accvgpr_read_b32 v30, a186                               // 0000000096BC: D3D8401E 180001BA
	v_accvgpr_read_b32 v31, a187                               // 0000000096C4: D3D8401F 180001BB
	v_mul_f32_e32 v30, s47, v30                                // 0000000096CC: 0A3C3C2F
	v_mul_f32_e32 v31, s47, v31                                // 0000000096D0: 0A3E3E2F
	v_cmp_u_f32_e64 s[78:79], v30, v30                         // 0000000096D4: D048004E 00023D1E
	v_bfe_u32 v248, v30, 16, 1                                 // 0000000096DC: D1C800F8 0205211E
	v_add3_u32 v248, v30, v248, v251                           // 0000000096E4: D1FF00F8 07EFF11E
	v_cndmask_b32_e64 v28, v248, v250, s[78:79]                // 0000000096EC: D100001C 013BF5F8
	v_lshrrev_b32_e32 v28, 16, v28                             // 0000000096F4: 20383890
	v_cmp_u_f32_e64 s[78:79], v31, v31                         // 0000000096F8: D048004E 00023F1F
	v_bfe_u32 v248, v31, 16, 1                                 // 000000009700: D1C800F8 0205211F
	v_add3_u32 v248, v31, v248, v251                           // 000000009708: D1FF00F8 07EFF11F
	v_cndmask_b32_e64 v29, v248, v250, s[78:79]                // 000000009710: D100001D 013BF5F8
	v_and_or_b32 v61, v29, v249, v28                           // 000000009718: D201003D 0473F31D
	v_accvgpr_read_b32 v30, a188                               // 000000009720: D3D8401E 180001BC
	v_accvgpr_read_b32 v31, a189                               // 000000009728: D3D8401F 180001BD
	v_mul_f32_e32 v30, s47, v30                                // 000000009730: 0A3C3C2F
	v_mul_f32_e32 v31, s47, v31                                // 000000009734: 0A3E3E2F
	v_cmp_u_f32_e64 s[78:79], v30, v30                         // 000000009738: D048004E 00023D1E
	v_bfe_u32 v248, v30, 16, 1                                 // 000000009740: D1C800F8 0205211E
	v_add3_u32 v248, v30, v248, v251                           // 000000009748: D1FF00F8 07EFF11E
	v_cndmask_b32_e64 v28, v248, v250, s[78:79]                // 000000009750: D100001C 013BF5F8
	v_lshrrev_b32_e32 v28, 16, v28                             // 000000009758: 20383890
	v_cmp_u_f32_e64 s[78:79], v31, v31                         // 00000000975C: D048004E 00023F1F
	v_bfe_u32 v248, v31, 16, 1                                 // 000000009764: D1C800F8 0205211F
	v_add3_u32 v248, v31, v248, v251                           // 00000000976C: D1FF00F8 07EFF11F
	v_cndmask_b32_e64 v29, v248, v250, s[78:79]                // 000000009774: D100001D 013BF5F8
	v_and_or_b32 v62, v29, v249, v28                           // 00000000977C: D201003E 0473F31D
	v_accvgpr_read_b32 v30, a190                               // 000000009784: D3D8401E 180001BE
	v_accvgpr_read_b32 v31, a191                               // 00000000978C: D3D8401F 180001BF
	v_mul_f32_e32 v30, s47, v30                                // 000000009794: 0A3C3C2F
	v_mul_f32_e32 v31, s47, v31                                // 000000009798: 0A3E3E2F
	v_cmp_u_f32_e64 s[78:79], v30, v30                         // 00000000979C: D048004E 00023D1E
	v_bfe_u32 v248, v30, 16, 1                                 // 0000000097A4: D1C800F8 0205211E
	v_add3_u32 v248, v30, v248, v251                           // 0000000097AC: D1FF00F8 07EFF11E
	v_cndmask_b32_e64 v28, v248, v250, s[78:79]                // 0000000097B4: D100001C 013BF5F8
	v_lshrrev_b32_e32 v28, 16, v28                             // 0000000097BC: 20383890
	v_cmp_u_f32_e64 s[78:79], v31, v31                         // 0000000097C0: D048004E 00023F1F
	v_bfe_u32 v248, v31, 16, 1                                 // 0000000097C8: D1C800F8 0205211F
	v_add3_u32 v248, v31, v248, v251                           // 0000000097D0: D1FF00F8 07EFF11F
	v_cndmask_b32_e64 v29, v248, v250, s[78:79]                // 0000000097D8: D100001D 013BF5F8
	v_and_or_b32 v63, v29, v249, v28                           // 0000000097E0: D201003F 0473F31D
	ds_write_b64 v25, v[48:49]                                 // 0000000097E8: D89A0000 00003019
	ds_write_b64 v25, v[50:51] offset:528                      // 0000000097F0: D89A0210 00003219
	ds_write_b64 v25, v[52:53] offset:1056                     // 0000000097F8: D89A0420 00003419
	ds_write_b64 v25, v[54:55] offset:1584                     // 000000009800: D89A0630 00003619
	ds_write_b64 v25, v[56:57] offset:2112                     // 000000009808: D89A0840 00003819
	ds_write_b64 v25, v[58:59] offset:2640                     // 000000009810: D89A0A50 00003A19
	ds_write_b64 v25, v[60:61] offset:3168                     // 000000009818: D89A0C60 00003C19
	ds_write_b64 v25, v[62:63] offset:3696                     // 000000009820: D89A0E70 00003E19
	s_waitcnt lgkmcnt(0)                                       // 000000009828: BF8CC07F
	s_barrier                                                  // 00000000982C: BF8A0000
	ds_read_b64 v[48:49], v24                                  // 000000009830: D8EC0000 30000018
	ds_read_b64 v[50:51], v24 offset:128                       // 000000009838: D8EC0080 32000018
	ds_read_b64 v[52:53], v24 offset:32                        // 000000009840: D8EC0020 34000018
	ds_read_b64 v[54:55], v24 offset:160                       // 000000009848: D8EC00A0 36000018
	ds_read_b64 v[56:57], v24 offset:64                        // 000000009850: D8EC0040 38000018
	ds_read_b64 v[58:59], v24 offset:192                       // 000000009858: D8EC00C0 3A000018
	ds_read_b64 v[60:61], v24 offset:96                        // 000000009860: D8EC0060 3C000018
	ds_read_b64 v[62:63], v24 offset:224                       // 000000009868: D8EC00E0 3E000018
	s_waitcnt lgkmcnt(0)                                       // 000000009870: BF8CC07F
	s_mov_b32 s70, s52                                         // 000000009874: BEC60034
	buffer_store_dwordx4 v[48:51], v5, s[36:39], 0 idxen       // 000000009878: E07C2000 80093005
	v_add_u32_e32 v5, s70, v5                                  // 000000009880: 680A0A46
	buffer_store_dwordx4 v[52:55], v5, s[36:39], 0 idxen       // 000000009884: E07C2000 80093405
	v_add_u32_e32 v5, s70, v5                                  // 00000000988C: 680A0A46
	buffer_store_dwordx4 v[56:59], v5, s[36:39], 0 idxen       // 000000009890: E07C2000 80093805
	v_add_u32_e32 v5, s70, v5                                  // 000000009898: 680A0A46
	buffer_store_dwordx4 v[60:63], v5, s[36:39], 0 idxen       // 00000000989C: E07C2000 80093C05
	v_add_u32_e32 v5, s70, v5                                  // 0000000098A4: 680A0A46
	s_mul_i32 s60, 12, s70                                     // 0000000098A8: 923C468C
	v_add_u32_e32 v5, s60, v5                                  // 0000000098AC: 680A0A3C
	s_barrier                                                  // 0000000098B0: BF8A0000
	s_cmp_ge_i32 1, s72                                        // 0000000098B4: BF034881
	s_cbranch_scc1 label_1A4D                                  // 0000000098B8: BF85038A
	v_accvgpr_read_b32 v30, a192                               // 0000000098BC: D3D8401E 180001C0
	v_accvgpr_read_b32 v31, a193                               // 0000000098C4: D3D8401F 180001C1
	v_mul_f32_e32 v30, s47, v30                                // 0000000098CC: 0A3C3C2F
	v_mul_f32_e32 v31, s47, v31                                // 0000000098D0: 0A3E3E2F
	v_cmp_u_f32_e64 s[78:79], v30, v30                         // 0000000098D4: D048004E 00023D1E
	v_bfe_u32 v248, v30, 16, 1                                 // 0000000098DC: D1C800F8 0205211E
	v_add3_u32 v248, v30, v248, v251                           // 0000000098E4: D1FF00F8 07EFF11E
	v_cndmask_b32_e64 v28, v248, v250, s[78:79]                // 0000000098EC: D100001C 013BF5F8
	v_lshrrev_b32_e32 v28, 16, v28                             // 0000000098F4: 20383890
	v_cmp_u_f32_e64 s[78:79], v31, v31                         // 0000000098F8: D048004E 00023F1F
	v_bfe_u32 v248, v31, 16, 1                                 // 000000009900: D1C800F8 0205211F
	v_add3_u32 v248, v31, v248, v251                           // 000000009908: D1FF00F8 07EFF11F
	v_cndmask_b32_e64 v29, v248, v250, s[78:79]                // 000000009910: D100001D 013BF5F8
	v_and_or_b32 v64, v29, v249, v28                           // 000000009918: D2010040 0473F31D
	v_accvgpr_read_b32 v30, a194                               // 000000009920: D3D8401E 180001C2
	v_accvgpr_read_b32 v31, a195                               // 000000009928: D3D8401F 180001C3
	v_mul_f32_e32 v30, s47, v30                                // 000000009930: 0A3C3C2F
	v_mul_f32_e32 v31, s47, v31                                // 000000009934: 0A3E3E2F
	v_cmp_u_f32_e64 s[78:79], v30, v30                         // 000000009938: D048004E 00023D1E
	v_bfe_u32 v248, v30, 16, 1                                 // 000000009940: D1C800F8 0205211E
	v_add3_u32 v248, v30, v248, v251                           // 000000009948: D1FF00F8 07EFF11E
	v_cndmask_b32_e64 v28, v248, v250, s[78:79]                // 000000009950: D100001C 013BF5F8
	v_lshrrev_b32_e32 v28, 16, v28                             // 000000009958: 20383890
	v_cmp_u_f32_e64 s[78:79], v31, v31                         // 00000000995C: D048004E 00023F1F
	v_bfe_u32 v248, v31, 16, 1                                 // 000000009964: D1C800F8 0205211F
	v_add3_u32 v248, v31, v248, v251                           // 00000000996C: D1FF00F8 07EFF11F
	v_cndmask_b32_e64 v29, v248, v250, s[78:79]                // 000000009974: D100001D 013BF5F8
	v_and_or_b32 v65, v29, v249, v28                           // 00000000997C: D2010041 0473F31D
	v_accvgpr_read_b32 v30, a196                               // 000000009984: D3D8401E 180001C4
	v_accvgpr_read_b32 v31, a197                               // 00000000998C: D3D8401F 180001C5
	v_mul_f32_e32 v30, s47, v30                                // 000000009994: 0A3C3C2F
	v_mul_f32_e32 v31, s47, v31                                // 000000009998: 0A3E3E2F
	v_cmp_u_f32_e64 s[78:79], v30, v30                         // 00000000999C: D048004E 00023D1E
	v_bfe_u32 v248, v30, 16, 1                                 // 0000000099A4: D1C800F8 0205211E
	v_add3_u32 v248, v30, v248, v251                           // 0000000099AC: D1FF00F8 07EFF11E
	v_cndmask_b32_e64 v28, v248, v250, s[78:79]                // 0000000099B4: D100001C 013BF5F8
	v_lshrrev_b32_e32 v28, 16, v28                             // 0000000099BC: 20383890
	v_cmp_u_f32_e64 s[78:79], v31, v31                         // 0000000099C0: D048004E 00023F1F
	v_bfe_u32 v248, v31, 16, 1                                 // 0000000099C8: D1C800F8 0205211F
	v_add3_u32 v248, v31, v248, v251                           // 0000000099D0: D1FF00F8 07EFF11F
	v_cndmask_b32_e64 v29, v248, v250, s[78:79]                // 0000000099D8: D100001D 013BF5F8
	v_and_or_b32 v66, v29, v249, v28                           // 0000000099E0: D2010042 0473F31D
	v_accvgpr_read_b32 v30, a198                               // 0000000099E8: D3D8401E 180001C6
	v_accvgpr_read_b32 v31, a199                               // 0000000099F0: D3D8401F 180001C7
	v_mul_f32_e32 v30, s47, v30                                // 0000000099F8: 0A3C3C2F
	v_mul_f32_e32 v31, s47, v31                                // 0000000099FC: 0A3E3E2F
	v_cmp_u_f32_e64 s[78:79], v30, v30                         // 000000009A00: D048004E 00023D1E
	v_bfe_u32 v248, v30, 16, 1                                 // 000000009A08: D1C800F8 0205211E
	v_add3_u32 v248, v30, v248, v251                           // 000000009A10: D1FF00F8 07EFF11E
	v_cndmask_b32_e64 v28, v248, v250, s[78:79]                // 000000009A18: D100001C 013BF5F8
	v_lshrrev_b32_e32 v28, 16, v28                             // 000000009A20: 20383890
	v_cmp_u_f32_e64 s[78:79], v31, v31                         // 000000009A24: D048004E 00023F1F
	v_bfe_u32 v248, v31, 16, 1                                 // 000000009A2C: D1C800F8 0205211F
	v_add3_u32 v248, v31, v248, v251                           // 000000009A34: D1FF00F8 07EFF11F
	v_cndmask_b32_e64 v29, v248, v250, s[78:79]                // 000000009A3C: D100001D 013BF5F8
	v_and_or_b32 v67, v29, v249, v28                           // 000000009A44: D2010043 0473F31D
	v_accvgpr_read_b32 v30, a200                               // 000000009A4C: D3D8401E 180001C8
	v_accvgpr_read_b32 v31, a201                               // 000000009A54: D3D8401F 180001C9
	v_mul_f32_e32 v30, s47, v30                                // 000000009A5C: 0A3C3C2F
	v_mul_f32_e32 v31, s47, v31                                // 000000009A60: 0A3E3E2F
	v_cmp_u_f32_e64 s[78:79], v30, v30                         // 000000009A64: D048004E 00023D1E
	v_bfe_u32 v248, v30, 16, 1                                 // 000000009A6C: D1C800F8 0205211E
	v_add3_u32 v248, v30, v248, v251                           // 000000009A74: D1FF00F8 07EFF11E
	v_cndmask_b32_e64 v28, v248, v250, s[78:79]                // 000000009A7C: D100001C 013BF5F8
	v_lshrrev_b32_e32 v28, 16, v28                             // 000000009A84: 20383890
	v_cmp_u_f32_e64 s[78:79], v31, v31                         // 000000009A88: D048004E 00023F1F
	v_bfe_u32 v248, v31, 16, 1                                 // 000000009A90: D1C800F8 0205211F
	v_add3_u32 v248, v31, v248, v251                           // 000000009A98: D1FF00F8 07EFF11F
	v_cndmask_b32_e64 v29, v248, v250, s[78:79]                // 000000009AA0: D100001D 013BF5F8
	v_and_or_b32 v68, v29, v249, v28                           // 000000009AA8: D2010044 0473F31D
	v_accvgpr_read_b32 v30, a202                               // 000000009AB0: D3D8401E 180001CA
	v_accvgpr_read_b32 v31, a203                               // 000000009AB8: D3D8401F 180001CB
	v_mul_f32_e32 v30, s47, v30                                // 000000009AC0: 0A3C3C2F
	v_mul_f32_e32 v31, s47, v31                                // 000000009AC4: 0A3E3E2F
	v_cmp_u_f32_e64 s[78:79], v30, v30                         // 000000009AC8: D048004E 00023D1E
	v_bfe_u32 v248, v30, 16, 1                                 // 000000009AD0: D1C800F8 0205211E
	v_add3_u32 v248, v30, v248, v251                           // 000000009AD8: D1FF00F8 07EFF11E
	v_cndmask_b32_e64 v28, v248, v250, s[78:79]                // 000000009AE0: D100001C 013BF5F8
	v_lshrrev_b32_e32 v28, 16, v28                             // 000000009AE8: 20383890
	v_cmp_u_f32_e64 s[78:79], v31, v31                         // 000000009AEC: D048004E 00023F1F
	v_bfe_u32 v248, v31, 16, 1                                 // 000000009AF4: D1C800F8 0205211F
	v_add3_u32 v248, v31, v248, v251                           // 000000009AFC: D1FF00F8 07EFF11F
	v_cndmask_b32_e64 v29, v248, v250, s[78:79]                // 000000009B04: D100001D 013BF5F8
	v_and_or_b32 v69, v29, v249, v28                           // 000000009B0C: D2010045 0473F31D
	v_accvgpr_read_b32 v30, a204                               // 000000009B14: D3D8401E 180001CC
	v_accvgpr_read_b32 v31, a205                               // 000000009B1C: D3D8401F 180001CD
	v_mul_f32_e32 v30, s47, v30                                // 000000009B24: 0A3C3C2F
	v_mul_f32_e32 v31, s47, v31                                // 000000009B28: 0A3E3E2F
	v_cmp_u_f32_e64 s[78:79], v30, v30                         // 000000009B2C: D048004E 00023D1E
	v_bfe_u32 v248, v30, 16, 1                                 // 000000009B34: D1C800F8 0205211E
	v_add3_u32 v248, v30, v248, v251                           // 000000009B3C: D1FF00F8 07EFF11E
	v_cndmask_b32_e64 v28, v248, v250, s[78:79]                // 000000009B44: D100001C 013BF5F8
	v_lshrrev_b32_e32 v28, 16, v28                             // 000000009B4C: 20383890
	v_cmp_u_f32_e64 s[78:79], v31, v31                         // 000000009B50: D048004E 00023F1F
	v_bfe_u32 v248, v31, 16, 1                                 // 000000009B58: D1C800F8 0205211F
	v_add3_u32 v248, v31, v248, v251                           // 000000009B60: D1FF00F8 07EFF11F
	v_cndmask_b32_e64 v29, v248, v250, s[78:79]                // 000000009B68: D100001D 013BF5F8
	v_and_or_b32 v70, v29, v249, v28                           // 000000009B70: D2010046 0473F31D
	v_accvgpr_read_b32 v30, a206                               // 000000009B78: D3D8401E 180001CE
	v_accvgpr_read_b32 v31, a207                               // 000000009B80: D3D8401F 180001CF
	v_mul_f32_e32 v30, s47, v30                                // 000000009B88: 0A3C3C2F
	v_mul_f32_e32 v31, s47, v31                                // 000000009B8C: 0A3E3E2F
	v_cmp_u_f32_e64 s[78:79], v30, v30                         // 000000009B90: D048004E 00023D1E
	v_bfe_u32 v248, v30, 16, 1                                 // 000000009B98: D1C800F8 0205211E
	v_add3_u32 v248, v30, v248, v251                           // 000000009BA0: D1FF00F8 07EFF11E
	v_cndmask_b32_e64 v28, v248, v250, s[78:79]                // 000000009BA8: D100001C 013BF5F8
	v_lshrrev_b32_e32 v28, 16, v28                             // 000000009BB0: 20383890
	v_cmp_u_f32_e64 s[78:79], v31, v31                         // 000000009BB4: D048004E 00023F1F
	v_bfe_u32 v248, v31, 16, 1                                 // 000000009BBC: D1C800F8 0205211F
	v_add3_u32 v248, v31, v248, v251                           // 000000009BC4: D1FF00F8 07EFF11F
	v_cndmask_b32_e64 v29, v248, v250, s[78:79]                // 000000009BCC: D100001D 013BF5F8
	v_and_or_b32 v71, v29, v249, v28                           // 000000009BD4: D2010047 0473F31D
	v_accvgpr_read_b32 v30, a208                               // 000000009BDC: D3D8401E 180001D0
	v_accvgpr_read_b32 v31, a209                               // 000000009BE4: D3D8401F 180001D1
	v_mul_f32_e32 v30, s47, v30                                // 000000009BEC: 0A3C3C2F
	v_mul_f32_e32 v31, s47, v31                                // 000000009BF0: 0A3E3E2F
	v_cmp_u_f32_e64 s[78:79], v30, v30                         // 000000009BF4: D048004E 00023D1E
	v_bfe_u32 v248, v30, 16, 1                                 // 000000009BFC: D1C800F8 0205211E
	v_add3_u32 v248, v30, v248, v251                           // 000000009C04: D1FF00F8 07EFF11E
	v_cndmask_b32_e64 v28, v248, v250, s[78:79]                // 000000009C0C: D100001C 013BF5F8
	v_lshrrev_b32_e32 v28, 16, v28                             // 000000009C14: 20383890
	v_cmp_u_f32_e64 s[78:79], v31, v31                         // 000000009C18: D048004E 00023F1F
	v_bfe_u32 v248, v31, 16, 1                                 // 000000009C20: D1C800F8 0205211F
	v_add3_u32 v248, v31, v248, v251                           // 000000009C28: D1FF00F8 07EFF11F
	v_cndmask_b32_e64 v29, v248, v250, s[78:79]                // 000000009C30: D100001D 013BF5F8
	v_and_or_b32 v72, v29, v249, v28                           // 000000009C38: D2010048 0473F31D
	v_accvgpr_read_b32 v30, a210                               // 000000009C40: D3D8401E 180001D2
	v_accvgpr_read_b32 v31, a211                               // 000000009C48: D3D8401F 180001D3
	v_mul_f32_e32 v30, s47, v30                                // 000000009C50: 0A3C3C2F
	v_mul_f32_e32 v31, s47, v31                                // 000000009C54: 0A3E3E2F
	v_cmp_u_f32_e64 s[78:79], v30, v30                         // 000000009C58: D048004E 00023D1E
	v_bfe_u32 v248, v30, 16, 1                                 // 000000009C60: D1C800F8 0205211E
	v_add3_u32 v248, v30, v248, v251                           // 000000009C68: D1FF00F8 07EFF11E
	v_cndmask_b32_e64 v28, v248, v250, s[78:79]                // 000000009C70: D100001C 013BF5F8
	v_lshrrev_b32_e32 v28, 16, v28                             // 000000009C78: 20383890
	v_cmp_u_f32_e64 s[78:79], v31, v31                         // 000000009C7C: D048004E 00023F1F
	v_bfe_u32 v248, v31, 16, 1                                 // 000000009C84: D1C800F8 0205211F
	v_add3_u32 v248, v31, v248, v251                           // 000000009C8C: D1FF00F8 07EFF11F
	v_cndmask_b32_e64 v29, v248, v250, s[78:79]                // 000000009C94: D100001D 013BF5F8
	v_and_or_b32 v73, v29, v249, v28                           // 000000009C9C: D2010049 0473F31D
	v_accvgpr_read_b32 v30, a212                               // 000000009CA4: D3D8401E 180001D4
	v_accvgpr_read_b32 v31, a213                               // 000000009CAC: D3D8401F 180001D5
	v_mul_f32_e32 v30, s47, v30                                // 000000009CB4: 0A3C3C2F
	v_mul_f32_e32 v31, s47, v31                                // 000000009CB8: 0A3E3E2F
	v_cmp_u_f32_e64 s[78:79], v30, v30                         // 000000009CBC: D048004E 00023D1E
	v_bfe_u32 v248, v30, 16, 1                                 // 000000009CC4: D1C800F8 0205211E
	v_add3_u32 v248, v30, v248, v251                           // 000000009CCC: D1FF00F8 07EFF11E
	v_cndmask_b32_e64 v28, v248, v250, s[78:79]                // 000000009CD4: D100001C 013BF5F8
	v_lshrrev_b32_e32 v28, 16, v28                             // 000000009CDC: 20383890
	v_cmp_u_f32_e64 s[78:79], v31, v31                         // 000000009CE0: D048004E 00023F1F
	v_bfe_u32 v248, v31, 16, 1                                 // 000000009CE8: D1C800F8 0205211F
	v_add3_u32 v248, v31, v248, v251                           // 000000009CF0: D1FF00F8 07EFF11F
	v_cndmask_b32_e64 v29, v248, v250, s[78:79]                // 000000009CF8: D100001D 013BF5F8
	v_and_or_b32 v74, v29, v249, v28                           // 000000009D00: D201004A 0473F31D
	v_accvgpr_read_b32 v30, a214                               // 000000009D08: D3D8401E 180001D6
	v_accvgpr_read_b32 v31, a215                               // 000000009D10: D3D8401F 180001D7
	v_mul_f32_e32 v30, s47, v30                                // 000000009D18: 0A3C3C2F
	v_mul_f32_e32 v31, s47, v31                                // 000000009D1C: 0A3E3E2F
	v_cmp_u_f32_e64 s[78:79], v30, v30                         // 000000009D20: D048004E 00023D1E
	v_bfe_u32 v248, v30, 16, 1                                 // 000000009D28: D1C800F8 0205211E
	v_add3_u32 v248, v30, v248, v251                           // 000000009D30: D1FF00F8 07EFF11E
	v_cndmask_b32_e64 v28, v248, v250, s[78:79]                // 000000009D38: D100001C 013BF5F8
	v_lshrrev_b32_e32 v28, 16, v28                             // 000000009D40: 20383890
	v_cmp_u_f32_e64 s[78:79], v31, v31                         // 000000009D44: D048004E 00023F1F
	v_bfe_u32 v248, v31, 16, 1                                 // 000000009D4C: D1C800F8 0205211F
	v_add3_u32 v248, v31, v248, v251                           // 000000009D54: D1FF00F8 07EFF11F
	v_cndmask_b32_e64 v29, v248, v250, s[78:79]                // 000000009D5C: D100001D 013BF5F8
	v_and_or_b32 v75, v29, v249, v28                           // 000000009D64: D201004B 0473F31D
	v_accvgpr_read_b32 v30, a216                               // 000000009D6C: D3D8401E 180001D8
	v_accvgpr_read_b32 v31, a217                               // 000000009D74: D3D8401F 180001D9
	v_mul_f32_e32 v30, s47, v30                                // 000000009D7C: 0A3C3C2F
	v_mul_f32_e32 v31, s47, v31                                // 000000009D80: 0A3E3E2F
	v_cmp_u_f32_e64 s[78:79], v30, v30                         // 000000009D84: D048004E 00023D1E
	v_bfe_u32 v248, v30, 16, 1                                 // 000000009D8C: D1C800F8 0205211E
	v_add3_u32 v248, v30, v248, v251                           // 000000009D94: D1FF00F8 07EFF11E
	v_cndmask_b32_e64 v28, v248, v250, s[78:79]                // 000000009D9C: D100001C 013BF5F8
	v_lshrrev_b32_e32 v28, 16, v28                             // 000000009DA4: 20383890
	v_cmp_u_f32_e64 s[78:79], v31, v31                         // 000000009DA8: D048004E 00023F1F
	v_bfe_u32 v248, v31, 16, 1                                 // 000000009DB0: D1C800F8 0205211F
	v_add3_u32 v248, v31, v248, v251                           // 000000009DB8: D1FF00F8 07EFF11F
	v_cndmask_b32_e64 v29, v248, v250, s[78:79]                // 000000009DC0: D100001D 013BF5F8
	v_and_or_b32 v76, v29, v249, v28                           // 000000009DC8: D201004C 0473F31D
	v_accvgpr_read_b32 v30, a218                               // 000000009DD0: D3D8401E 180001DA
	v_accvgpr_read_b32 v31, a219                               // 000000009DD8: D3D8401F 180001DB
	v_mul_f32_e32 v30, s47, v30                                // 000000009DE0: 0A3C3C2F
	v_mul_f32_e32 v31, s47, v31                                // 000000009DE4: 0A3E3E2F
	v_cmp_u_f32_e64 s[78:79], v30, v30                         // 000000009DE8: D048004E 00023D1E
	v_bfe_u32 v248, v30, 16, 1                                 // 000000009DF0: D1C800F8 0205211E
	v_add3_u32 v248, v30, v248, v251                           // 000000009DF8: D1FF00F8 07EFF11E
	v_cndmask_b32_e64 v28, v248, v250, s[78:79]                // 000000009E00: D100001C 013BF5F8
	v_lshrrev_b32_e32 v28, 16, v28                             // 000000009E08: 20383890
	v_cmp_u_f32_e64 s[78:79], v31, v31                         // 000000009E0C: D048004E 00023F1F
	v_bfe_u32 v248, v31, 16, 1                                 // 000000009E14: D1C800F8 0205211F
	v_add3_u32 v248, v31, v248, v251                           // 000000009E1C: D1FF00F8 07EFF11F
	v_cndmask_b32_e64 v29, v248, v250, s[78:79]                // 000000009E24: D100001D 013BF5F8
	v_and_or_b32 v77, v29, v249, v28                           // 000000009E2C: D201004D 0473F31D
	v_accvgpr_read_b32 v30, a220                               // 000000009E34: D3D8401E 180001DC
	v_accvgpr_read_b32 v31, a221                               // 000000009E3C: D3D8401F 180001DD
	v_mul_f32_e32 v30, s47, v30                                // 000000009E44: 0A3C3C2F
	v_mul_f32_e32 v31, s47, v31                                // 000000009E48: 0A3E3E2F
	v_cmp_u_f32_e64 s[78:79], v30, v30                         // 000000009E4C: D048004E 00023D1E
	v_bfe_u32 v248, v30, 16, 1                                 // 000000009E54: D1C800F8 0205211E
	v_add3_u32 v248, v30, v248, v251                           // 000000009E5C: D1FF00F8 07EFF11E
	v_cndmask_b32_e64 v28, v248, v250, s[78:79]                // 000000009E64: D100001C 013BF5F8
	v_lshrrev_b32_e32 v28, 16, v28                             // 000000009E6C: 20383890
	v_cmp_u_f32_e64 s[78:79], v31, v31                         // 000000009E70: D048004E 00023F1F
	v_bfe_u32 v248, v31, 16, 1                                 // 000000009E78: D1C800F8 0205211F
	v_add3_u32 v248, v31, v248, v251                           // 000000009E80: D1FF00F8 07EFF11F
	v_cndmask_b32_e64 v29, v248, v250, s[78:79]                // 000000009E88: D100001D 013BF5F8
	v_and_or_b32 v78, v29, v249, v28                           // 000000009E90: D201004E 0473F31D
	v_accvgpr_read_b32 v30, a222                               // 000000009E98: D3D8401E 180001DE
	v_accvgpr_read_b32 v31, a223                               // 000000009EA0: D3D8401F 180001DF
	v_mul_f32_e32 v30, s47, v30                                // 000000009EA8: 0A3C3C2F
	v_mul_f32_e32 v31, s47, v31                                // 000000009EAC: 0A3E3E2F
	v_cmp_u_f32_e64 s[78:79], v30, v30                         // 000000009EB0: D048004E 00023D1E
	v_bfe_u32 v248, v30, 16, 1                                 // 000000009EB8: D1C800F8 0205211E
	v_add3_u32 v248, v30, v248, v251                           // 000000009EC0: D1FF00F8 07EFF11E
	v_cndmask_b32_e64 v28, v248, v250, s[78:79]                // 000000009EC8: D100001C 013BF5F8
	v_lshrrev_b32_e32 v28, 16, v28                             // 000000009ED0: 20383890
	v_cmp_u_f32_e64 s[78:79], v31, v31                         // 000000009ED4: D048004E 00023F1F
	v_bfe_u32 v248, v31, 16, 1                                 // 000000009EDC: D1C800F8 0205211F
	v_add3_u32 v248, v31, v248, v251                           // 000000009EE4: D1FF00F8 07EFF11F
	v_cndmask_b32_e64 v29, v248, v250, s[78:79]                // 000000009EEC: D100001D 013BF5F8
	v_and_or_b32 v79, v29, v249, v28                           // 000000009EF4: D201004F 0473F31D
	ds_write_b64 v25, v[64:65] offset:16896                    // 000000009EFC: D89A4200 00004019
	ds_write_b64 v25, v[66:67] offset:17424                    // 000000009F04: D89A4410 00004219
	ds_write_b64 v25, v[68:69] offset:17952                    // 000000009F0C: D89A4620 00004419
	ds_write_b64 v25, v[70:71] offset:18480                    // 000000009F14: D89A4830 00004619
	ds_write_b64 v25, v[72:73] offset:19008                    // 000000009F1C: D89A4A40 00004819
	ds_write_b64 v25, v[74:75] offset:19536                    // 000000009F24: D89A4C50 00004A19
	ds_write_b64 v25, v[76:77] offset:20064                    // 000000009F2C: D89A4E60 00004C19
	ds_write_b64 v25, v[78:79] offset:20592                    // 000000009F34: D89A5070 00004E19
	s_waitcnt lgkmcnt(0)                                       // 000000009F3C: BF8CC07F
	s_barrier                                                  // 000000009F40: BF8A0000
	ds_read_b64 v[64:65], v24 offset:16896                     // 000000009F44: D8EC4200 40000018
	ds_read_b64 v[66:67], v24 offset:17024                     // 000000009F4C: D8EC4280 42000018
	ds_read_b64 v[68:69], v24 offset:16928                     // 000000009F54: D8EC4220 44000018
	ds_read_b64 v[70:71], v24 offset:17056                     // 000000009F5C: D8EC42A0 46000018
	ds_read_b64 v[72:73], v24 offset:16960                     // 000000009F64: D8EC4240 48000018
	ds_read_b64 v[74:75], v24 offset:17088                     // 000000009F6C: D8EC42C0 4A000018
	ds_read_b64 v[76:77], v24 offset:16992                     // 000000009F74: D8EC4260 4C000018
	ds_read_b64 v[78:79], v24 offset:17120                     // 000000009F7C: D8EC42E0 4E000018
	s_waitcnt lgkmcnt(0)                                       // 000000009F84: BF8CC07F
	s_mov_b32 s70, s52                                         // 000000009F88: BEC60034
	buffer_store_dwordx4 v[64:67], v5, s[36:39], 0 idxen       // 000000009F8C: E07C2000 80094005
	v_add_u32_e32 v5, s70, v5                                  // 000000009F94: 680A0A46
	buffer_store_dwordx4 v[68:71], v5, s[36:39], 0 idxen       // 000000009F98: E07C2000 80094405
	v_add_u32_e32 v5, s70, v5                                  // 000000009FA0: 680A0A46
	buffer_store_dwordx4 v[72:75], v5, s[36:39], 0 idxen       // 000000009FA4: E07C2000 80094805
	v_add_u32_e32 v5, s70, v5                                  // 000000009FAC: 680A0A46
	buffer_store_dwordx4 v[76:79], v5, s[36:39], 0 idxen       // 000000009FB0: E07C2000 80094C05
	v_add_u32_e32 v5, s70, v5                                  // 000000009FB8: 680A0A46
	s_mul_i32 s60, 12, s70                                     // 000000009FBC: 923C468C
	v_add_u32_e32 v5, s60, v5                                  // 000000009FC0: 680A0A3C
	s_barrier                                                  // 000000009FC4: BF8A0000
	s_cmp_ge_i32 2, s72                                        // 000000009FC8: BF034882
	s_cbranch_scc1 label_1A4D                                  // 000000009FCC: BF8501C5
	v_accvgpr_read_b32 v30, a224                               // 000000009FD0: D3D8401E 180001E0
	v_accvgpr_read_b32 v31, a225                               // 000000009FD8: D3D8401F 180001E1
	v_mul_f32_e32 v30, s47, v30                                // 000000009FE0: 0A3C3C2F
	v_mul_f32_e32 v31, s47, v31                                // 000000009FE4: 0A3E3E2F
	v_cmp_u_f32_e64 s[78:79], v30, v30                         // 000000009FE8: D048004E 00023D1E
	v_bfe_u32 v248, v30, 16, 1                                 // 000000009FF0: D1C800F8 0205211E
	v_add3_u32 v248, v30, v248, v251                           // 000000009FF8: D1FF00F8 07EFF11E
	v_cndmask_b32_e64 v28, v248, v250, s[78:79]                // 00000000A000: D100001C 013BF5F8
	v_lshrrev_b32_e32 v28, 16, v28                             // 00000000A008: 20383890
	v_cmp_u_f32_e64 s[78:79], v31, v31                         // 00000000A00C: D048004E 00023F1F
	v_bfe_u32 v248, v31, 16, 1                                 // 00000000A014: D1C800F8 0205211F
	v_add3_u32 v248, v31, v248, v251                           // 00000000A01C: D1FF00F8 07EFF11F
	v_cndmask_b32_e64 v29, v248, v250, s[78:79]                // 00000000A024: D100001D 013BF5F8
	v_and_or_b32 v80, v29, v249, v28                           // 00000000A02C: D2010050 0473F31D
	v_accvgpr_read_b32 v30, a226                               // 00000000A034: D3D8401E 180001E2
	v_accvgpr_read_b32 v31, a227                               // 00000000A03C: D3D8401F 180001E3
	v_mul_f32_e32 v30, s47, v30                                // 00000000A044: 0A3C3C2F
	v_mul_f32_e32 v31, s47, v31                                // 00000000A048: 0A3E3E2F
	v_cmp_u_f32_e64 s[78:79], v30, v30                         // 00000000A04C: D048004E 00023D1E
	v_bfe_u32 v248, v30, 16, 1                                 // 00000000A054: D1C800F8 0205211E
	v_add3_u32 v248, v30, v248, v251                           // 00000000A05C: D1FF00F8 07EFF11E
	v_cndmask_b32_e64 v28, v248, v250, s[78:79]                // 00000000A064: D100001C 013BF5F8
	v_lshrrev_b32_e32 v28, 16, v28                             // 00000000A06C: 20383890
	v_cmp_u_f32_e64 s[78:79], v31, v31                         // 00000000A070: D048004E 00023F1F
	v_bfe_u32 v248, v31, 16, 1                                 // 00000000A078: D1C800F8 0205211F
	v_add3_u32 v248, v31, v248, v251                           // 00000000A080: D1FF00F8 07EFF11F
	v_cndmask_b32_e64 v29, v248, v250, s[78:79]                // 00000000A088: D100001D 013BF5F8
	v_and_or_b32 v81, v29, v249, v28                           // 00000000A090: D2010051 0473F31D
	v_accvgpr_read_b32 v30, a228                               // 00000000A098: D3D8401E 180001E4
	v_accvgpr_read_b32 v31, a229                               // 00000000A0A0: D3D8401F 180001E5
	v_mul_f32_e32 v30, s47, v30                                // 00000000A0A8: 0A3C3C2F
	v_mul_f32_e32 v31, s47, v31                                // 00000000A0AC: 0A3E3E2F
	v_cmp_u_f32_e64 s[78:79], v30, v30                         // 00000000A0B0: D048004E 00023D1E
	v_bfe_u32 v248, v30, 16, 1                                 // 00000000A0B8: D1C800F8 0205211E
	v_add3_u32 v248, v30, v248, v251                           // 00000000A0C0: D1FF00F8 07EFF11E
	v_cndmask_b32_e64 v28, v248, v250, s[78:79]                // 00000000A0C8: D100001C 013BF5F8
	v_lshrrev_b32_e32 v28, 16, v28                             // 00000000A0D0: 20383890
	v_cmp_u_f32_e64 s[78:79], v31, v31                         // 00000000A0D4: D048004E 00023F1F
	v_bfe_u32 v248, v31, 16, 1                                 // 00000000A0DC: D1C800F8 0205211F
	v_add3_u32 v248, v31, v248, v251                           // 00000000A0E4: D1FF00F8 07EFF11F
	v_cndmask_b32_e64 v29, v248, v250, s[78:79]                // 00000000A0EC: D100001D 013BF5F8
	v_and_or_b32 v82, v29, v249, v28                           // 00000000A0F4: D2010052 0473F31D
	v_accvgpr_read_b32 v30, a230                               // 00000000A0FC: D3D8401E 180001E6
	v_accvgpr_read_b32 v31, a231                               // 00000000A104: D3D8401F 180001E7
	v_mul_f32_e32 v30, s47, v30                                // 00000000A10C: 0A3C3C2F
	v_mul_f32_e32 v31, s47, v31                                // 00000000A110: 0A3E3E2F
	v_cmp_u_f32_e64 s[78:79], v30, v30                         // 00000000A114: D048004E 00023D1E
	v_bfe_u32 v248, v30, 16, 1                                 // 00000000A11C: D1C800F8 0205211E
	v_add3_u32 v248, v30, v248, v251                           // 00000000A124: D1FF00F8 07EFF11E
	v_cndmask_b32_e64 v28, v248, v250, s[78:79]                // 00000000A12C: D100001C 013BF5F8
	v_lshrrev_b32_e32 v28, 16, v28                             // 00000000A134: 20383890
	v_cmp_u_f32_e64 s[78:79], v31, v31                         // 00000000A138: D048004E 00023F1F
	v_bfe_u32 v248, v31, 16, 1                                 // 00000000A140: D1C800F8 0205211F
	v_add3_u32 v248, v31, v248, v251                           // 00000000A148: D1FF00F8 07EFF11F
	v_cndmask_b32_e64 v29, v248, v250, s[78:79]                // 00000000A150: D100001D 013BF5F8
	v_and_or_b32 v83, v29, v249, v28                           // 00000000A158: D2010053 0473F31D
	v_accvgpr_read_b32 v30, a232                               // 00000000A160: D3D8401E 180001E8
	v_accvgpr_read_b32 v31, a233                               // 00000000A168: D3D8401F 180001E9
	v_mul_f32_e32 v30, s47, v30                                // 00000000A170: 0A3C3C2F
	v_mul_f32_e32 v31, s47, v31                                // 00000000A174: 0A3E3E2F
	v_cmp_u_f32_e64 s[78:79], v30, v30                         // 00000000A178: D048004E 00023D1E
	v_bfe_u32 v248, v30, 16, 1                                 // 00000000A180: D1C800F8 0205211E
	v_add3_u32 v248, v30, v248, v251                           // 00000000A188: D1FF00F8 07EFF11E
	v_cndmask_b32_e64 v28, v248, v250, s[78:79]                // 00000000A190: D100001C 013BF5F8
	v_lshrrev_b32_e32 v28, 16, v28                             // 00000000A198: 20383890
	v_cmp_u_f32_e64 s[78:79], v31, v31                         // 00000000A19C: D048004E 00023F1F
	v_bfe_u32 v248, v31, 16, 1                                 // 00000000A1A4: D1C800F8 0205211F
	v_add3_u32 v248, v31, v248, v251                           // 00000000A1AC: D1FF00F8 07EFF11F
	v_cndmask_b32_e64 v29, v248, v250, s[78:79]                // 00000000A1B4: D100001D 013BF5F8
	v_and_or_b32 v84, v29, v249, v28                           // 00000000A1BC: D2010054 0473F31D
	v_accvgpr_read_b32 v30, a234                               // 00000000A1C4: D3D8401E 180001EA
	v_accvgpr_read_b32 v31, a235                               // 00000000A1CC: D3D8401F 180001EB
	v_mul_f32_e32 v30, s47, v30                                // 00000000A1D4: 0A3C3C2F
	v_mul_f32_e32 v31, s47, v31                                // 00000000A1D8: 0A3E3E2F
	v_cmp_u_f32_e64 s[78:79], v30, v30                         // 00000000A1DC: D048004E 00023D1E
	v_bfe_u32 v248, v30, 16, 1                                 // 00000000A1E4: D1C800F8 0205211E
	v_add3_u32 v248, v30, v248, v251                           // 00000000A1EC: D1FF00F8 07EFF11E
	v_cndmask_b32_e64 v28, v248, v250, s[78:79]                // 00000000A1F4: D100001C 013BF5F8
	v_lshrrev_b32_e32 v28, 16, v28                             // 00000000A1FC: 20383890
	v_cmp_u_f32_e64 s[78:79], v31, v31                         // 00000000A200: D048004E 00023F1F
	v_bfe_u32 v248, v31, 16, 1                                 // 00000000A208: D1C800F8 0205211F
	v_add3_u32 v248, v31, v248, v251                           // 00000000A210: D1FF00F8 07EFF11F
	v_cndmask_b32_e64 v29, v248, v250, s[78:79]                // 00000000A218: D100001D 013BF5F8
	v_and_or_b32 v85, v29, v249, v28                           // 00000000A220: D2010055 0473F31D
	v_accvgpr_read_b32 v30, a236                               // 00000000A228: D3D8401E 180001EC
	v_accvgpr_read_b32 v31, a237                               // 00000000A230: D3D8401F 180001ED
	v_mul_f32_e32 v30, s47, v30                                // 00000000A238: 0A3C3C2F
	v_mul_f32_e32 v31, s47, v31                                // 00000000A23C: 0A3E3E2F
	v_cmp_u_f32_e64 s[78:79], v30, v30                         // 00000000A240: D048004E 00023D1E
	v_bfe_u32 v248, v30, 16, 1                                 // 00000000A248: D1C800F8 0205211E
	v_add3_u32 v248, v30, v248, v251                           // 00000000A250: D1FF00F8 07EFF11E
	v_cndmask_b32_e64 v28, v248, v250, s[78:79]                // 00000000A258: D100001C 013BF5F8
	v_lshrrev_b32_e32 v28, 16, v28                             // 00000000A260: 20383890
	v_cmp_u_f32_e64 s[78:79], v31, v31                         // 00000000A264: D048004E 00023F1F
	v_bfe_u32 v248, v31, 16, 1                                 // 00000000A26C: D1C800F8 0205211F
	v_add3_u32 v248, v31, v248, v251                           // 00000000A274: D1FF00F8 07EFF11F
	v_cndmask_b32_e64 v29, v248, v250, s[78:79]                // 00000000A27C: D100001D 013BF5F8
	v_and_or_b32 v86, v29, v249, v28                           // 00000000A284: D2010056 0473F31D
	v_accvgpr_read_b32 v30, a238                               // 00000000A28C: D3D8401E 180001EE
	v_accvgpr_read_b32 v31, a239                               // 00000000A294: D3D8401F 180001EF
	v_mul_f32_e32 v30, s47, v30                                // 00000000A29C: 0A3C3C2F
	v_mul_f32_e32 v31, s47, v31                                // 00000000A2A0: 0A3E3E2F
	v_cmp_u_f32_e64 s[78:79], v30, v30                         // 00000000A2A4: D048004E 00023D1E
	v_bfe_u32 v248, v30, 16, 1                                 // 00000000A2AC: D1C800F8 0205211E
	v_add3_u32 v248, v30, v248, v251                           // 00000000A2B4: D1FF00F8 07EFF11E
	v_cndmask_b32_e64 v28, v248, v250, s[78:79]                // 00000000A2BC: D100001C 013BF5F8
	v_lshrrev_b32_e32 v28, 16, v28                             // 00000000A2C4: 20383890
	v_cmp_u_f32_e64 s[78:79], v31, v31                         // 00000000A2C8: D048004E 00023F1F
	v_bfe_u32 v248, v31, 16, 1                                 // 00000000A2D0: D1C800F8 0205211F
	v_add3_u32 v248, v31, v248, v251                           // 00000000A2D8: D1FF00F8 07EFF11F
	v_cndmask_b32_e64 v29, v248, v250, s[78:79]                // 00000000A2E0: D100001D 013BF5F8
	v_and_or_b32 v87, v29, v249, v28                           // 00000000A2E8: D2010057 0473F31D
	v_accvgpr_read_b32 v30, a240                               // 00000000A2F0: D3D8401E 180001F0
	v_accvgpr_read_b32 v31, a241                               // 00000000A2F8: D3D8401F 180001F1
	v_mul_f32_e32 v30, s47, v30                                // 00000000A300: 0A3C3C2F
	v_mul_f32_e32 v31, s47, v31                                // 00000000A304: 0A3E3E2F
	v_cmp_u_f32_e64 s[78:79], v30, v30                         // 00000000A308: D048004E 00023D1E
	v_bfe_u32 v248, v30, 16, 1                                 // 00000000A310: D1C800F8 0205211E
	v_add3_u32 v248, v30, v248, v251                           // 00000000A318: D1FF00F8 07EFF11E
	v_cndmask_b32_e64 v28, v248, v250, s[78:79]                // 00000000A320: D100001C 013BF5F8
	v_lshrrev_b32_e32 v28, 16, v28                             // 00000000A328: 20383890
	v_cmp_u_f32_e64 s[78:79], v31, v31                         // 00000000A32C: D048004E 00023F1F
	v_bfe_u32 v248, v31, 16, 1                                 // 00000000A334: D1C800F8 0205211F
	v_add3_u32 v248, v31, v248, v251                           // 00000000A33C: D1FF00F8 07EFF11F
	v_cndmask_b32_e64 v29, v248, v250, s[78:79]                // 00000000A344: D100001D 013BF5F8
	v_and_or_b32 v88, v29, v249, v28                           // 00000000A34C: D2010058 0473F31D
	v_accvgpr_read_b32 v30, a242                               // 00000000A354: D3D8401E 180001F2
	v_accvgpr_read_b32 v31, a243                               // 00000000A35C: D3D8401F 180001F3
	v_mul_f32_e32 v30, s47, v30                                // 00000000A364: 0A3C3C2F
	v_mul_f32_e32 v31, s47, v31                                // 00000000A368: 0A3E3E2F
	v_cmp_u_f32_e64 s[78:79], v30, v30                         // 00000000A36C: D048004E 00023D1E
	v_bfe_u32 v248, v30, 16, 1                                 // 00000000A374: D1C800F8 0205211E
	v_add3_u32 v248, v30, v248, v251                           // 00000000A37C: D1FF00F8 07EFF11E
	v_cndmask_b32_e64 v28, v248, v250, s[78:79]                // 00000000A384: D100001C 013BF5F8
	v_lshrrev_b32_e32 v28, 16, v28                             // 00000000A38C: 20383890
	v_cmp_u_f32_e64 s[78:79], v31, v31                         // 00000000A390: D048004E 00023F1F
	v_bfe_u32 v248, v31, 16, 1                                 // 00000000A398: D1C800F8 0205211F
	v_add3_u32 v248, v31, v248, v251                           // 00000000A3A0: D1FF00F8 07EFF11F
	v_cndmask_b32_e64 v29, v248, v250, s[78:79]                // 00000000A3A8: D100001D 013BF5F8
	v_and_or_b32 v89, v29, v249, v28                           // 00000000A3B0: D2010059 0473F31D
	v_accvgpr_read_b32 v30, a244                               // 00000000A3B8: D3D8401E 180001F4
	v_accvgpr_read_b32 v31, a245                               // 00000000A3C0: D3D8401F 180001F5
	v_mul_f32_e32 v30, s47, v30                                // 00000000A3C8: 0A3C3C2F
	v_mul_f32_e32 v31, s47, v31                                // 00000000A3CC: 0A3E3E2F
	v_cmp_u_f32_e64 s[78:79], v30, v30                         // 00000000A3D0: D048004E 00023D1E
	v_bfe_u32 v248, v30, 16, 1                                 // 00000000A3D8: D1C800F8 0205211E
	v_add3_u32 v248, v30, v248, v251                           // 00000000A3E0: D1FF00F8 07EFF11E
	v_cndmask_b32_e64 v28, v248, v250, s[78:79]                // 00000000A3E8: D100001C 013BF5F8
	v_lshrrev_b32_e32 v28, 16, v28                             // 00000000A3F0: 20383890
	v_cmp_u_f32_e64 s[78:79], v31, v31                         // 00000000A3F4: D048004E 00023F1F
	v_bfe_u32 v248, v31, 16, 1                                 // 00000000A3FC: D1C800F8 0205211F
	v_add3_u32 v248, v31, v248, v251                           // 00000000A404: D1FF00F8 07EFF11F
	v_cndmask_b32_e64 v29, v248, v250, s[78:79]                // 00000000A40C: D100001D 013BF5F8
	v_and_or_b32 v90, v29, v249, v28                           // 00000000A414: D201005A 0473F31D
	v_accvgpr_read_b32 v30, a246                               // 00000000A41C: D3D8401E 180001F6
	v_accvgpr_read_b32 v31, a247                               // 00000000A424: D3D8401F 180001F7
	v_mul_f32_e32 v30, s47, v30                                // 00000000A42C: 0A3C3C2F
	v_mul_f32_e32 v31, s47, v31                                // 00000000A430: 0A3E3E2F
	v_cmp_u_f32_e64 s[78:79], v30, v30                         // 00000000A434: D048004E 00023D1E
	v_bfe_u32 v248, v30, 16, 1                                 // 00000000A43C: D1C800F8 0205211E
	v_add3_u32 v248, v30, v248, v251                           // 00000000A444: D1FF00F8 07EFF11E
	v_cndmask_b32_e64 v28, v248, v250, s[78:79]                // 00000000A44C: D100001C 013BF5F8
	v_lshrrev_b32_e32 v28, 16, v28                             // 00000000A454: 20383890
	v_cmp_u_f32_e64 s[78:79], v31, v31                         // 00000000A458: D048004E 00023F1F
	v_bfe_u32 v248, v31, 16, 1                                 // 00000000A460: D1C800F8 0205211F
	v_add3_u32 v248, v31, v248, v251                           // 00000000A468: D1FF00F8 07EFF11F
	v_cndmask_b32_e64 v29, v248, v250, s[78:79]                // 00000000A470: D100001D 013BF5F8
	v_and_or_b32 v91, v29, v249, v28                           // 00000000A478: D201005B 0473F31D
	v_accvgpr_read_b32 v30, a248                               // 00000000A480: D3D8401E 180001F8
	v_accvgpr_read_b32 v31, a249                               // 00000000A488: D3D8401F 180001F9
	v_mul_f32_e32 v30, s47, v30                                // 00000000A490: 0A3C3C2F
	v_mul_f32_e32 v31, s47, v31                                // 00000000A494: 0A3E3E2F
	v_cmp_u_f32_e64 s[78:79], v30, v30                         // 00000000A498: D048004E 00023D1E
	v_bfe_u32 v248, v30, 16, 1                                 // 00000000A4A0: D1C800F8 0205211E
	v_add3_u32 v248, v30, v248, v251                           // 00000000A4A8: D1FF00F8 07EFF11E
	v_cndmask_b32_e64 v28, v248, v250, s[78:79]                // 00000000A4B0: D100001C 013BF5F8
	v_lshrrev_b32_e32 v28, 16, v28                             // 00000000A4B8: 20383890
	v_cmp_u_f32_e64 s[78:79], v31, v31                         // 00000000A4BC: D048004E 00023F1F
	v_bfe_u32 v248, v31, 16, 1                                 // 00000000A4C4: D1C800F8 0205211F
	v_add3_u32 v248, v31, v248, v251                           // 00000000A4CC: D1FF00F8 07EFF11F
	v_cndmask_b32_e64 v29, v248, v250, s[78:79]                // 00000000A4D4: D100001D 013BF5F8
	v_and_or_b32 v92, v29, v249, v28                           // 00000000A4DC: D201005C 0473F31D
	v_accvgpr_read_b32 v30, a250                               // 00000000A4E4: D3D8401E 180001FA
	v_accvgpr_read_b32 v31, a251                               // 00000000A4EC: D3D8401F 180001FB
	v_mul_f32_e32 v30, s47, v30                                // 00000000A4F4: 0A3C3C2F
	v_mul_f32_e32 v31, s47, v31                                // 00000000A4F8: 0A3E3E2F
	v_cmp_u_f32_e64 s[78:79], v30, v30                         // 00000000A4FC: D048004E 00023D1E
	v_bfe_u32 v248, v30, 16, 1                                 // 00000000A504: D1C800F8 0205211E
	v_add3_u32 v248, v30, v248, v251                           // 00000000A50C: D1FF00F8 07EFF11E
	v_cndmask_b32_e64 v28, v248, v250, s[78:79]                // 00000000A514: D100001C 013BF5F8
	v_lshrrev_b32_e32 v28, 16, v28                             // 00000000A51C: 20383890
	v_cmp_u_f32_e64 s[78:79], v31, v31                         // 00000000A520: D048004E 00023F1F
	v_bfe_u32 v248, v31, 16, 1                                 // 00000000A528: D1C800F8 0205211F
	v_add3_u32 v248, v31, v248, v251                           // 00000000A530: D1FF00F8 07EFF11F
	v_cndmask_b32_e64 v29, v248, v250, s[78:79]                // 00000000A538: D100001D 013BF5F8
	v_and_or_b32 v93, v29, v249, v28                           // 00000000A540: D201005D 0473F31D
	v_accvgpr_read_b32 v30, a252                               // 00000000A548: D3D8401E 180001FC
	v_accvgpr_read_b32 v31, a253                               // 00000000A550: D3D8401F 180001FD
	v_mul_f32_e32 v30, s47, v30                                // 00000000A558: 0A3C3C2F
	v_mul_f32_e32 v31, s47, v31                                // 00000000A55C: 0A3E3E2F
	v_cmp_u_f32_e64 s[78:79], v30, v30                         // 00000000A560: D048004E 00023D1E
	v_bfe_u32 v248, v30, 16, 1                                 // 00000000A568: D1C800F8 0205211E
	v_add3_u32 v248, v30, v248, v251                           // 00000000A570: D1FF00F8 07EFF11E
	v_cndmask_b32_e64 v28, v248, v250, s[78:79]                // 00000000A578: D100001C 013BF5F8
	v_lshrrev_b32_e32 v28, 16, v28                             // 00000000A580: 20383890
	v_cmp_u_f32_e64 s[78:79], v31, v31                         // 00000000A584: D048004E 00023F1F
	v_bfe_u32 v248, v31, 16, 1                                 // 00000000A58C: D1C800F8 0205211F
	v_add3_u32 v248, v31, v248, v251                           // 00000000A594: D1FF00F8 07EFF11F
	v_cndmask_b32_e64 v29, v248, v250, s[78:79]                // 00000000A59C: D100001D 013BF5F8
	v_and_or_b32 v94, v29, v249, v28                           // 00000000A5A4: D201005E 0473F31D
	v_accvgpr_read_b32 v30, a254                               // 00000000A5AC: D3D8401E 180001FE
	v_accvgpr_read_b32 v31, a255                               // 00000000A5B4: D3D8401F 180001FF
	v_mul_f32_e32 v30, s47, v30                                // 00000000A5BC: 0A3C3C2F
	v_mul_f32_e32 v31, s47, v31                                // 00000000A5C0: 0A3E3E2F
	v_cmp_u_f32_e64 s[78:79], v30, v30                         // 00000000A5C4: D048004E 00023D1E
	v_bfe_u32 v248, v30, 16, 1                                 // 00000000A5CC: D1C800F8 0205211E
	v_add3_u32 v248, v30, v248, v251                           // 00000000A5D4: D1FF00F8 07EFF11E
	v_cndmask_b32_e64 v28, v248, v250, s[78:79]                // 00000000A5DC: D100001C 013BF5F8
	v_lshrrev_b32_e32 v28, 16, v28                             // 00000000A5E4: 20383890
	v_cmp_u_f32_e64 s[78:79], v31, v31                         // 00000000A5E8: D048004E 00023F1F
	v_bfe_u32 v248, v31, 16, 1                                 // 00000000A5F0: D1C800F8 0205211F
	v_add3_u32 v248, v31, v248, v251                           // 00000000A5F8: D1FF00F8 07EFF11F
	v_cndmask_b32_e64 v29, v248, v250, s[78:79]                // 00000000A600: D100001D 013BF5F8
	v_and_or_b32 v95, v29, v249, v28                           // 00000000A608: D201005F 0473F31D
	ds_write_b64 v25, v[80:81] offset:33792                    // 00000000A610: D89A8400 00005019
	ds_write_b64 v25, v[82:83] offset:34320                    // 00000000A618: D89A8610 00005219
	ds_write_b64 v25, v[84:85] offset:34848                    // 00000000A620: D89A8820 00005419
	ds_write_b64 v25, v[86:87] offset:35376                    // 00000000A628: D89A8A30 00005619
	ds_write_b64 v25, v[88:89] offset:35904                    // 00000000A630: D89A8C40 00005819
	ds_write_b64 v25, v[90:91] offset:36432                    // 00000000A638: D89A8E50 00005A19
	ds_write_b64 v25, v[92:93] offset:36960                    // 00000000A640: D89A9060 00005C19
	ds_write_b64 v25, v[94:95] offset:37488                    // 00000000A648: D89A9270 00005E19
	s_waitcnt lgkmcnt(0)                                       // 00000000A650: BF8CC07F
	s_barrier                                                  // 00000000A654: BF8A0000
	ds_read_b64 v[80:81], v24 offset:33792                     // 00000000A658: D8EC8400 50000018
	ds_read_b64 v[82:83], v24 offset:33920                     // 00000000A660: D8EC8480 52000018
	ds_read_b64 v[84:85], v24 offset:33824                     // 00000000A668: D8EC8420 54000018
	ds_read_b64 v[86:87], v24 offset:33952                     // 00000000A670: D8EC84A0 56000018
	ds_read_b64 v[88:89], v24 offset:33856                     // 00000000A678: D8EC8440 58000018
	ds_read_b64 v[90:91], v24 offset:33984                     // 00000000A680: D8EC84C0 5A000018
	ds_read_b64 v[92:93], v24 offset:33888                     // 00000000A688: D8EC8460 5C000018
	ds_read_b64 v[94:95], v24 offset:34016                     // 00000000A690: D8EC84E0 5E000018
	s_waitcnt lgkmcnt(0)                                       // 00000000A698: BF8CC07F
	s_mov_b32 s70, s52                                         // 00000000A69C: BEC60034
	buffer_store_dwordx4 v[80:83], v5, s[36:39], 0 idxen       // 00000000A6A0: E07C2000 80095005
	v_add_u32_e32 v5, s70, v5                                  // 00000000A6A8: 680A0A46
	buffer_store_dwordx4 v[84:87], v5, s[36:39], 0 idxen       // 00000000A6AC: E07C2000 80095405
	v_add_u32_e32 v5, s70, v5                                  // 00000000A6B4: 680A0A46
	buffer_store_dwordx4 v[88:91], v5, s[36:39], 0 idxen       // 00000000A6B8: E07C2000 80095805
	v_add_u32_e32 v5, s70, v5                                  // 00000000A6C0: 680A0A46
	buffer_store_dwordx4 v[92:95], v5, s[36:39], 0 idxen       // 00000000A6C4: E07C2000 80095C05
	v_add_u32_e32 v5, s70, v5                                  // 00000000A6CC: 680A0A46
	s_mul_i32 s60, 12, s70                                     // 00000000A6D0: 923C468C
	v_add_u32_e32 v5, s60, v5                                  // 00000000A6D4: 680A0A3C
	s_barrier                                                  // 00000000A6D8: BF8A0000
	s_cmp_ge_i32 3, s72                                        // 00000000A6DC: BF034883
	s_cbranch_scc1 label_1A4D                                  // 00000000A6E0: BF850000

000000000000a6e4 <label_1A4D>:
	v_mov_b32_e32 v30, v152                                    // 00000000A6E4: 7E3C0398
	v_mov_b32_e32 v31, v153                                    // 00000000A6E8: 7E3E0399
	v_cmp_u_f32_e64 s[78:79], v30, v30                         // 00000000A6EC: D048004E 00023D1E
	v_bfe_u32 v248, v30, 16, 1                                 // 00000000A6F4: D1C800F8 0205211E
	v_add3_u32 v248, v30, v248, v251                           // 00000000A6FC: D1FF00F8 07EFF11E
	v_cndmask_b32_e64 v28, v248, v250, s[78:79]                // 00000000A704: D100001C 013BF5F8
	v_lshrrev_b32_e32 v28, 16, v28                             // 00000000A70C: 20383890
	v_cmp_u_f32_e64 s[78:79], v31, v31                         // 00000000A710: D048004E 00023F1F
	v_bfe_u32 v248, v31, 16, 1                                 // 00000000A718: D1C800F8 0205211F
	v_add3_u32 v248, v31, v248, v251                           // 00000000A720: D1FF00F8 07EFF11F
	v_cndmask_b32_e64 v29, v248, v250, s[78:79]                // 00000000A728: D100001D 013BF5F8
	v_and_or_b32 v152, v29, v249, v28                          // 00000000A730: D2010098 0473F31D
	v_mov_b32_e32 v30, v154                                    // 00000000A738: 7E3C039A
	v_mov_b32_e32 v31, v155                                    // 00000000A73C: 7E3E039B
	v_cmp_u_f32_e64 s[78:79], v30, v30                         // 00000000A740: D048004E 00023D1E
	v_bfe_u32 v248, v30, 16, 1                                 // 00000000A748: D1C800F8 0205211E
	v_add3_u32 v248, v30, v248, v251                           // 00000000A750: D1FF00F8 07EFF11E
	v_cndmask_b32_e64 v28, v248, v250, s[78:79]                // 00000000A758: D100001C 013BF5F8
	v_lshrrev_b32_e32 v28, 16, v28                             // 00000000A760: 20383890
	v_cmp_u_f32_e64 s[78:79], v31, v31                         // 00000000A764: D048004E 00023F1F
	v_bfe_u32 v248, v31, 16, 1                                 // 00000000A76C: D1C800F8 0205211F
	v_add3_u32 v248, v31, v248, v251                           // 00000000A774: D1FF00F8 07EFF11F
	v_cndmask_b32_e64 v29, v248, v250, s[78:79]                // 00000000A77C: D100001D 013BF5F8
	v_and_or_b32 v153, v29, v249, v28                          // 00000000A784: D2010099 0473F31D
	v_mov_b32_e32 v30, v156                                    // 00000000A78C: 7E3C039C
	v_mov_b32_e32 v31, v157                                    // 00000000A790: 7E3E039D
	v_cmp_u_f32_e64 s[78:79], v30, v30                         // 00000000A794: D048004E 00023D1E
	v_bfe_u32 v248, v30, 16, 1                                 // 00000000A79C: D1C800F8 0205211E
	v_add3_u32 v248, v30, v248, v251                           // 00000000A7A4: D1FF00F8 07EFF11E
	v_cndmask_b32_e64 v28, v248, v250, s[78:79]                // 00000000A7AC: D100001C 013BF5F8
	v_lshrrev_b32_e32 v28, 16, v28                             // 00000000A7B4: 20383890
	v_cmp_u_f32_e64 s[78:79], v31, v31                         // 00000000A7B8: D048004E 00023F1F
	v_bfe_u32 v248, v31, 16, 1                                 // 00000000A7C0: D1C800F8 0205211F
	v_add3_u32 v248, v31, v248, v251                           // 00000000A7C8: D1FF00F8 07EFF11F
	v_cndmask_b32_e64 v29, v248, v250, s[78:79]                // 00000000A7D0: D100001D 013BF5F8
	v_and_or_b32 v154, v29, v249, v28                          // 00000000A7D8: D201009A 0473F31D
	v_mov_b32_e32 v30, v158                                    // 00000000A7E0: 7E3C039E
	v_mov_b32_e32 v31, v159                                    // 00000000A7E4: 7E3E039F
	v_cmp_u_f32_e64 s[78:79], v30, v30                         // 00000000A7E8: D048004E 00023D1E
	v_bfe_u32 v248, v30, 16, 1                                 // 00000000A7F0: D1C800F8 0205211E
	v_add3_u32 v248, v30, v248, v251                           // 00000000A7F8: D1FF00F8 07EFF11E
	v_cndmask_b32_e64 v28, v248, v250, s[78:79]                // 00000000A800: D100001C 013BF5F8
	v_lshrrev_b32_e32 v28, 16, v28                             // 00000000A808: 20383890
	v_cmp_u_f32_e64 s[78:79], v31, v31                         // 00000000A80C: D048004E 00023F1F
	v_bfe_u32 v248, v31, 16, 1                                 // 00000000A814: D1C800F8 0205211F
	v_add3_u32 v248, v31, v248, v251                           // 00000000A81C: D1FF00F8 07EFF11F
	v_cndmask_b32_e64 v29, v248, v250, s[78:79]                // 00000000A824: D100001D 013BF5F8
	v_and_or_b32 v155, v29, v249, v28                          // 00000000A82C: D201009B 0473F31D
	v_mov_b32_e32 v30, v160                                    // 00000000A834: 7E3C03A0
	v_mov_b32_e32 v31, v161                                    // 00000000A838: 7E3E03A1
	v_cmp_u_f32_e64 s[78:79], v30, v30                         // 00000000A83C: D048004E 00023D1E
	v_bfe_u32 v248, v30, 16, 1                                 // 00000000A844: D1C800F8 0205211E
	v_add3_u32 v248, v30, v248, v251                           // 00000000A84C: D1FF00F8 07EFF11E
	v_cndmask_b32_e64 v28, v248, v250, s[78:79]                // 00000000A854: D100001C 013BF5F8
	v_lshrrev_b32_e32 v28, 16, v28                             // 00000000A85C: 20383890
	v_cmp_u_f32_e64 s[78:79], v31, v31                         // 00000000A860: D048004E 00023F1F
	v_bfe_u32 v248, v31, 16, 1                                 // 00000000A868: D1C800F8 0205211F
	v_add3_u32 v248, v31, v248, v251                           // 00000000A870: D1FF00F8 07EFF11F
	v_cndmask_b32_e64 v29, v248, v250, s[78:79]                // 00000000A878: D100001D 013BF5F8
	v_and_or_b32 v156, v29, v249, v28                          // 00000000A880: D201009C 0473F31D
	v_mov_b32_e32 v30, v162                                    // 00000000A888: 7E3C03A2
	v_mov_b32_e32 v31, v163                                    // 00000000A88C: 7E3E03A3
	v_cmp_u_f32_e64 s[78:79], v30, v30                         // 00000000A890: D048004E 00023D1E
	v_bfe_u32 v248, v30, 16, 1                                 // 00000000A898: D1C800F8 0205211E
	v_add3_u32 v248, v30, v248, v251                           // 00000000A8A0: D1FF00F8 07EFF11E
	v_cndmask_b32_e64 v28, v248, v250, s[78:79]                // 00000000A8A8: D100001C 013BF5F8
	v_lshrrev_b32_e32 v28, 16, v28                             // 00000000A8B0: 20383890
	v_cmp_u_f32_e64 s[78:79], v31, v31                         // 00000000A8B4: D048004E 00023F1F
	v_bfe_u32 v248, v31, 16, 1                                 // 00000000A8BC: D1C800F8 0205211F
	v_add3_u32 v248, v31, v248, v251                           // 00000000A8C4: D1FF00F8 07EFF11F
	v_cndmask_b32_e64 v29, v248, v250, s[78:79]                // 00000000A8CC: D100001D 013BF5F8
	v_and_or_b32 v157, v29, v249, v28                          // 00000000A8D4: D201009D 0473F31D
	v_mov_b32_e32 v30, v164                                    // 00000000A8DC: 7E3C03A4
	v_mov_b32_e32 v31, v165                                    // 00000000A8E0: 7E3E03A5
	v_cmp_u_f32_e64 s[78:79], v30, v30                         // 00000000A8E4: D048004E 00023D1E
	v_bfe_u32 v248, v30, 16, 1                                 // 00000000A8EC: D1C800F8 0205211E
	v_add3_u32 v248, v30, v248, v251                           // 00000000A8F4: D1FF00F8 07EFF11E
	v_cndmask_b32_e64 v28, v248, v250, s[78:79]                // 00000000A8FC: D100001C 013BF5F8
	v_lshrrev_b32_e32 v28, 16, v28                             // 00000000A904: 20383890
	v_cmp_u_f32_e64 s[78:79], v31, v31                         // 00000000A908: D048004E 00023F1F
	v_bfe_u32 v248, v31, 16, 1                                 // 00000000A910: D1C800F8 0205211F
	v_add3_u32 v248, v31, v248, v251                           // 00000000A918: D1FF00F8 07EFF11F
	v_cndmask_b32_e64 v29, v248, v250, s[78:79]                // 00000000A920: D100001D 013BF5F8
	v_and_or_b32 v158, v29, v249, v28                          // 00000000A928: D201009E 0473F31D
	v_mov_b32_e32 v30, v166                                    // 00000000A930: 7E3C03A6
	v_mov_b32_e32 v31, v167                                    // 00000000A934: 7E3E03A7
	v_cmp_u_f32_e64 s[78:79], v30, v30                         // 00000000A938: D048004E 00023D1E
	v_bfe_u32 v248, v30, 16, 1                                 // 00000000A940: D1C800F8 0205211E
	v_add3_u32 v248, v30, v248, v251                           // 00000000A948: D1FF00F8 07EFF11E
	v_cndmask_b32_e64 v28, v248, v250, s[78:79]                // 00000000A950: D100001C 013BF5F8
	v_lshrrev_b32_e32 v28, 16, v28                             // 00000000A958: 20383890
	v_cmp_u_f32_e64 s[78:79], v31, v31                         // 00000000A95C: D048004E 00023F1F
	v_bfe_u32 v248, v31, 16, 1                                 // 00000000A964: D1C800F8 0205211F
	v_add3_u32 v248, v31, v248, v251                           // 00000000A96C: D1FF00F8 07EFF11F
	v_cndmask_b32_e64 v29, v248, v250, s[78:79]                // 00000000A974: D100001D 013BF5F8
	v_and_or_b32 v159, v29, v249, v28                          // 00000000A97C: D201009F 0473F31D
	v_mov_b32_e32 v30, v168                                    // 00000000A984: 7E3C03A8
	v_mov_b32_e32 v31, v169                                    // 00000000A988: 7E3E03A9
	v_cmp_u_f32_e64 s[78:79], v30, v30                         // 00000000A98C: D048004E 00023D1E
	v_bfe_u32 v248, v30, 16, 1                                 // 00000000A994: D1C800F8 0205211E
	v_add3_u32 v248, v30, v248, v251                           // 00000000A99C: D1FF00F8 07EFF11E
	v_cndmask_b32_e64 v28, v248, v250, s[78:79]                // 00000000A9A4: D100001C 013BF5F8
	v_lshrrev_b32_e32 v28, 16, v28                             // 00000000A9AC: 20383890
	v_cmp_u_f32_e64 s[78:79], v31, v31                         // 00000000A9B0: D048004E 00023F1F
	v_bfe_u32 v248, v31, 16, 1                                 // 00000000A9B8: D1C800F8 0205211F
	v_add3_u32 v248, v31, v248, v251                           // 00000000A9C0: D1FF00F8 07EFF11F
	v_cndmask_b32_e64 v29, v248, v250, s[78:79]                // 00000000A9C8: D100001D 013BF5F8
	v_and_or_b32 v160, v29, v249, v28                          // 00000000A9D0: D20100A0 0473F31D
	v_mov_b32_e32 v30, v170                                    // 00000000A9D8: 7E3C03AA
	v_mov_b32_e32 v31, v171                                    // 00000000A9DC: 7E3E03AB
	v_cmp_u_f32_e64 s[78:79], v30, v30                         // 00000000A9E0: D048004E 00023D1E
	v_bfe_u32 v248, v30, 16, 1                                 // 00000000A9E8: D1C800F8 0205211E
	v_add3_u32 v248, v30, v248, v251                           // 00000000A9F0: D1FF00F8 07EFF11E
	v_cndmask_b32_e64 v28, v248, v250, s[78:79]                // 00000000A9F8: D100001C 013BF5F8
	v_lshrrev_b32_e32 v28, 16, v28                             // 00000000AA00: 20383890
	v_cmp_u_f32_e64 s[78:79], v31, v31                         // 00000000AA04: D048004E 00023F1F
	v_bfe_u32 v248, v31, 16, 1                                 // 00000000AA0C: D1C800F8 0205211F
	v_add3_u32 v248, v31, v248, v251                           // 00000000AA14: D1FF00F8 07EFF11F
	v_cndmask_b32_e64 v29, v248, v250, s[78:79]                // 00000000AA1C: D100001D 013BF5F8
	v_and_or_b32 v161, v29, v249, v28                          // 00000000AA24: D20100A1 0473F31D
	v_mov_b32_e32 v30, v172                                    // 00000000AA2C: 7E3C03AC
	v_mov_b32_e32 v31, v173                                    // 00000000AA30: 7E3E03AD
	v_cmp_u_f32_e64 s[78:79], v30, v30                         // 00000000AA34: D048004E 00023D1E
	v_bfe_u32 v248, v30, 16, 1                                 // 00000000AA3C: D1C800F8 0205211E
	v_add3_u32 v248, v30, v248, v251                           // 00000000AA44: D1FF00F8 07EFF11E
	v_cndmask_b32_e64 v28, v248, v250, s[78:79]                // 00000000AA4C: D100001C 013BF5F8
	v_lshrrev_b32_e32 v28, 16, v28                             // 00000000AA54: 20383890
	v_cmp_u_f32_e64 s[78:79], v31, v31                         // 00000000AA58: D048004E 00023F1F
	v_bfe_u32 v248, v31, 16, 1                                 // 00000000AA60: D1C800F8 0205211F
	v_add3_u32 v248, v31, v248, v251                           // 00000000AA68: D1FF00F8 07EFF11F
	v_cndmask_b32_e64 v29, v248, v250, s[78:79]                // 00000000AA70: D100001D 013BF5F8
	v_and_or_b32 v162, v29, v249, v28                          // 00000000AA78: D20100A2 0473F31D
	v_mov_b32_e32 v30, v174                                    // 00000000AA80: 7E3C03AE
	v_mov_b32_e32 v31, v175                                    // 00000000AA84: 7E3E03AF
	v_cmp_u_f32_e64 s[78:79], v30, v30                         // 00000000AA88: D048004E 00023D1E
	v_bfe_u32 v248, v30, 16, 1                                 // 00000000AA90: D1C800F8 0205211E
	v_add3_u32 v248, v30, v248, v251                           // 00000000AA98: D1FF00F8 07EFF11E
	v_cndmask_b32_e64 v28, v248, v250, s[78:79]                // 00000000AAA0: D100001C 013BF5F8
	v_lshrrev_b32_e32 v28, 16, v28                             // 00000000AAA8: 20383890
	v_cmp_u_f32_e64 s[78:79], v31, v31                         // 00000000AAAC: D048004E 00023F1F
	v_bfe_u32 v248, v31, 16, 1                                 // 00000000AAB4: D1C800F8 0205211F
	v_add3_u32 v248, v31, v248, v251                           // 00000000AABC: D1FF00F8 07EFF11F
	v_cndmask_b32_e64 v29, v248, v250, s[78:79]                // 00000000AAC4: D100001D 013BF5F8
	v_and_or_b32 v163, v29, v249, v28                          // 00000000AACC: D20100A3 0473F31D
	v_mov_b32_e32 v30, v176                                    // 00000000AAD4: 7E3C03B0
	v_mov_b32_e32 v31, v177                                    // 00000000AAD8: 7E3E03B1
	v_cmp_u_f32_e64 s[78:79], v30, v30                         // 00000000AADC: D048004E 00023D1E
	v_bfe_u32 v248, v30, 16, 1                                 // 00000000AAE4: D1C800F8 0205211E
	v_add3_u32 v248, v30, v248, v251                           // 00000000AAEC: D1FF00F8 07EFF11E
	v_cndmask_b32_e64 v28, v248, v250, s[78:79]                // 00000000AAF4: D100001C 013BF5F8
	v_lshrrev_b32_e32 v28, 16, v28                             // 00000000AAFC: 20383890
	v_cmp_u_f32_e64 s[78:79], v31, v31                         // 00000000AB00: D048004E 00023F1F
	v_bfe_u32 v248, v31, 16, 1                                 // 00000000AB08: D1C800F8 0205211F
	v_add3_u32 v248, v31, v248, v251                           // 00000000AB10: D1FF00F8 07EFF11F
	v_cndmask_b32_e64 v29, v248, v250, s[78:79]                // 00000000AB18: D100001D 013BF5F8
	v_and_or_b32 v164, v29, v249, v28                          // 00000000AB20: D20100A4 0473F31D
	v_mov_b32_e32 v30, v178                                    // 00000000AB28: 7E3C03B2
	v_mov_b32_e32 v31, v179                                    // 00000000AB2C: 7E3E03B3
	v_cmp_u_f32_e64 s[78:79], v30, v30                         // 00000000AB30: D048004E 00023D1E
	v_bfe_u32 v248, v30, 16, 1                                 // 00000000AB38: D1C800F8 0205211E
	v_add3_u32 v248, v30, v248, v251                           // 00000000AB40: D1FF00F8 07EFF11E
	v_cndmask_b32_e64 v28, v248, v250, s[78:79]                // 00000000AB48: D100001C 013BF5F8
	v_lshrrev_b32_e32 v28, 16, v28                             // 00000000AB50: 20383890
	v_cmp_u_f32_e64 s[78:79], v31, v31                         // 00000000AB54: D048004E 00023F1F
	v_bfe_u32 v248, v31, 16, 1                                 // 00000000AB5C: D1C800F8 0205211F
	v_add3_u32 v248, v31, v248, v251                           // 00000000AB64: D1FF00F8 07EFF11F
	v_cndmask_b32_e64 v29, v248, v250, s[78:79]                // 00000000AB6C: D100001D 013BF5F8
	v_and_or_b32 v165, v29, v249, v28                          // 00000000AB74: D20100A5 0473F31D
	v_mov_b32_e32 v30, v180                                    // 00000000AB7C: 7E3C03B4
	v_mov_b32_e32 v31, v181                                    // 00000000AB80: 7E3E03B5
	v_cmp_u_f32_e64 s[78:79], v30, v30                         // 00000000AB84: D048004E 00023D1E
	v_bfe_u32 v248, v30, 16, 1                                 // 00000000AB8C: D1C800F8 0205211E
	v_add3_u32 v248, v30, v248, v251                           // 00000000AB94: D1FF00F8 07EFF11E
	v_cndmask_b32_e64 v28, v248, v250, s[78:79]                // 00000000AB9C: D100001C 013BF5F8
	v_lshrrev_b32_e32 v28, 16, v28                             // 00000000ABA4: 20383890
	v_cmp_u_f32_e64 s[78:79], v31, v31                         // 00000000ABA8: D048004E 00023F1F
	v_bfe_u32 v248, v31, 16, 1                                 // 00000000ABB0: D1C800F8 0205211F
	v_add3_u32 v248, v31, v248, v251                           // 00000000ABB8: D1FF00F8 07EFF11F
	v_cndmask_b32_e64 v29, v248, v250, s[78:79]                // 00000000ABC0: D100001D 013BF5F8
	v_and_or_b32 v166, v29, v249, v28                          // 00000000ABC8: D20100A6 0473F31D
	v_mov_b32_e32 v30, v182                                    // 00000000ABD0: 7E3C03B6
	v_mov_b32_e32 v31, v183                                    // 00000000ABD4: 7E3E03B7
	v_cmp_u_f32_e64 s[78:79], v30, v30                         // 00000000ABD8: D048004E 00023D1E
	v_bfe_u32 v248, v30, 16, 1                                 // 00000000ABE0: D1C800F8 0205211E
	v_add3_u32 v248, v30, v248, v251                           // 00000000ABE8: D1FF00F8 07EFF11E
	v_cndmask_b32_e64 v28, v248, v250, s[78:79]                // 00000000ABF0: D100001C 013BF5F8
	v_lshrrev_b32_e32 v28, 16, v28                             // 00000000ABF8: 20383890
	v_cmp_u_f32_e64 s[78:79], v31, v31                         // 00000000ABFC: D048004E 00023F1F
	v_bfe_u32 v248, v31, 16, 1                                 // 00000000AC04: D1C800F8 0205211F
	v_add3_u32 v248, v31, v248, v251                           // 00000000AC0C: D1FF00F8 07EFF11F
	v_cndmask_b32_e64 v29, v248, v250, s[78:79]                // 00000000AC14: D100001D 013BF5F8
	v_and_or_b32 v167, v29, v249, v28                          // 00000000AC1C: D20100A7 0473F31D
	ds_write_b64 v25, v[152:153]                               // 00000000AC24: D89A0000 00009819
	ds_write_b64 v25, v[154:155] offset:528                    // 00000000AC2C: D89A0210 00009A19
	ds_write_b64 v25, v[156:157] offset:1056                   // 00000000AC34: D89A0420 00009C19
	ds_write_b64 v25, v[158:159] offset:1584                   // 00000000AC3C: D89A0630 00009E19
	ds_write_b64 v25, v[160:161] offset:2112                   // 00000000AC44: D89A0840 0000A019
	ds_write_b64 v25, v[162:163] offset:2640                   // 00000000AC4C: D89A0A50 0000A219
	ds_write_b64 v25, v[164:165] offset:3168                   // 00000000AC54: D89A0C60 0000A419
	ds_write_b64 v25, v[166:167] offset:3696                   // 00000000AC5C: D89A0E70 0000A619
	s_waitcnt lgkmcnt(0)                                       // 00000000AC64: BF8CC07F
	s_barrier                                                  // 00000000AC68: BF8A0000
	ds_read_b64 v[152:153], v24                                // 00000000AC6C: D8EC0000 98000018
	ds_read_b64 v[154:155], v24 offset:128                     // 00000000AC74: D8EC0080 9A000018
	ds_read_b64 v[156:157], v24 offset:32                      // 00000000AC7C: D8EC0020 9C000018
	ds_read_b64 v[158:159], v24 offset:160                     // 00000000AC84: D8EC00A0 9E000018
	ds_read_b64 v[160:161], v24 offset:64                      // 00000000AC8C: D8EC0040 A0000018
	ds_read_b64 v[162:163], v24 offset:192                     // 00000000AC94: D8EC00C0 A2000018
	ds_read_b64 v[164:165], v24 offset:96                      // 00000000AC9C: D8EC0060 A4000018
	ds_read_b64 v[166:167], v24 offset:224                     // 00000000ACA4: D8EC00E0 A6000018
	s_waitcnt lgkmcnt(0)                                       // 00000000ACAC: BF8CC07F
	s_mov_b32 s70, s53                                         // 00000000ACB0: BEC60035
	buffer_store_dwordx4 v[152:155], v6, s[40:43], 0 idxen     // 00000000ACB4: E07C2000 800A9806
	v_add_u32_e32 v6, s70, v6                                  // 00000000ACBC: 680C0C46
	buffer_store_dwordx4 v[156:159], v6, s[40:43], 0 idxen     // 00000000ACC0: E07C2000 800A9C06
	v_add_u32_e32 v6, s70, v6                                  // 00000000ACC8: 680C0C46
	buffer_store_dwordx4 v[160:163], v6, s[40:43], 0 idxen     // 00000000ACCC: E07C2000 800AA006
	v_add_u32_e32 v6, s70, v6                                  // 00000000ACD4: 680C0C46
	buffer_store_dwordx4 v[164:167], v6, s[40:43], 0 idxen     // 00000000ACD8: E07C2000 800AA406
	v_add_u32_e32 v6, s70, v6                                  // 00000000ACE0: 680C0C46
	s_mul_i32 s60, 12, s70                                     // 00000000ACE4: 923C468C
	v_add_u32_e32 v6, s60, v6                                  // 00000000ACE8: 680C0C3C
	s_cmp_ge_i32 1, s72                                        // 00000000ACEC: BF034881
	s_cbranch_scc1 label_1ED9                                  // 00000000ACF0: BF850308
	v_mov_b32_e32 v30, v184                                    // 00000000ACF4: 7E3C03B8
	v_mov_b32_e32 v31, v185                                    // 00000000ACF8: 7E3E03B9
	v_cmp_u_f32_e64 s[78:79], v30, v30                         // 00000000ACFC: D048004E 00023D1E
	v_bfe_u32 v248, v30, 16, 1                                 // 00000000AD04: D1C800F8 0205211E
	v_add3_u32 v248, v30, v248, v251                           // 00000000AD0C: D1FF00F8 07EFF11E
	v_cndmask_b32_e64 v28, v248, v250, s[78:79]                // 00000000AD14: D100001C 013BF5F8
	v_lshrrev_b32_e32 v28, 16, v28                             // 00000000AD1C: 20383890
	v_cmp_u_f32_e64 s[78:79], v31, v31                         // 00000000AD20: D048004E 00023F1F
	v_bfe_u32 v248, v31, 16, 1                                 // 00000000AD28: D1C800F8 0205211F
	v_add3_u32 v248, v31, v248, v251                           // 00000000AD30: D1FF00F8 07EFF11F
	v_cndmask_b32_e64 v29, v248, v250, s[78:79]                // 00000000AD38: D100001D 013BF5F8
	v_and_or_b32 v168, v29, v249, v28                          // 00000000AD40: D20100A8 0473F31D
	v_mov_b32_e32 v30, v186                                    // 00000000AD48: 7E3C03BA
	v_mov_b32_e32 v31, v187                                    // 00000000AD4C: 7E3E03BB
	v_cmp_u_f32_e64 s[78:79], v30, v30                         // 00000000AD50: D048004E 00023D1E
	v_bfe_u32 v248, v30, 16, 1                                 // 00000000AD58: D1C800F8 0205211E
	v_add3_u32 v248, v30, v248, v251                           // 00000000AD60: D1FF00F8 07EFF11E
	v_cndmask_b32_e64 v28, v248, v250, s[78:79]                // 00000000AD68: D100001C 013BF5F8
	v_lshrrev_b32_e32 v28, 16, v28                             // 00000000AD70: 20383890
	v_cmp_u_f32_e64 s[78:79], v31, v31                         // 00000000AD74: D048004E 00023F1F
	v_bfe_u32 v248, v31, 16, 1                                 // 00000000AD7C: D1C800F8 0205211F
	v_add3_u32 v248, v31, v248, v251                           // 00000000AD84: D1FF00F8 07EFF11F
	v_cndmask_b32_e64 v29, v248, v250, s[78:79]                // 00000000AD8C: D100001D 013BF5F8
	v_and_or_b32 v169, v29, v249, v28                          // 00000000AD94: D20100A9 0473F31D
	v_mov_b32_e32 v30, v188                                    // 00000000AD9C: 7E3C03BC
	v_mov_b32_e32 v31, v189                                    // 00000000ADA0: 7E3E03BD
	v_cmp_u_f32_e64 s[78:79], v30, v30                         // 00000000ADA4: D048004E 00023D1E
	v_bfe_u32 v248, v30, 16, 1                                 // 00000000ADAC: D1C800F8 0205211E
	v_add3_u32 v248, v30, v248, v251                           // 00000000ADB4: D1FF00F8 07EFF11E
	v_cndmask_b32_e64 v28, v248, v250, s[78:79]                // 00000000ADBC: D100001C 013BF5F8
	v_lshrrev_b32_e32 v28, 16, v28                             // 00000000ADC4: 20383890
	v_cmp_u_f32_e64 s[78:79], v31, v31                         // 00000000ADC8: D048004E 00023F1F
	v_bfe_u32 v248, v31, 16, 1                                 // 00000000ADD0: D1C800F8 0205211F
	v_add3_u32 v248, v31, v248, v251                           // 00000000ADD8: D1FF00F8 07EFF11F
	v_cndmask_b32_e64 v29, v248, v250, s[78:79]                // 00000000ADE0: D100001D 013BF5F8
	v_and_or_b32 v170, v29, v249, v28                          // 00000000ADE8: D20100AA 0473F31D
	v_mov_b32_e32 v30, v190                                    // 00000000ADF0: 7E3C03BE
	v_mov_b32_e32 v31, v191                                    // 00000000ADF4: 7E3E03BF
	v_cmp_u_f32_e64 s[78:79], v30, v30                         // 00000000ADF8: D048004E 00023D1E
	v_bfe_u32 v248, v30, 16, 1                                 // 00000000AE00: D1C800F8 0205211E
	v_add3_u32 v248, v30, v248, v251                           // 00000000AE08: D1FF00F8 07EFF11E
	v_cndmask_b32_e64 v28, v248, v250, s[78:79]                // 00000000AE10: D100001C 013BF5F8
	v_lshrrev_b32_e32 v28, 16, v28                             // 00000000AE18: 20383890
	v_cmp_u_f32_e64 s[78:79], v31, v31                         // 00000000AE1C: D048004E 00023F1F
	v_bfe_u32 v248, v31, 16, 1                                 // 00000000AE24: D1C800F8 0205211F
	v_add3_u32 v248, v31, v248, v251                           // 00000000AE2C: D1FF00F8 07EFF11F
	v_cndmask_b32_e64 v29, v248, v250, s[78:79]                // 00000000AE34: D100001D 013BF5F8
	v_and_or_b32 v171, v29, v249, v28                          // 00000000AE3C: D20100AB 0473F31D
	v_mov_b32_e32 v30, v192                                    // 00000000AE44: 7E3C03C0
	v_mov_b32_e32 v31, v193                                    // 00000000AE48: 7E3E03C1
	v_cmp_u_f32_e64 s[78:79], v30, v30                         // 00000000AE4C: D048004E 00023D1E
	v_bfe_u32 v248, v30, 16, 1                                 // 00000000AE54: D1C800F8 0205211E
	v_add3_u32 v248, v30, v248, v251                           // 00000000AE5C: D1FF00F8 07EFF11E
	v_cndmask_b32_e64 v28, v248, v250, s[78:79]                // 00000000AE64: D100001C 013BF5F8
	v_lshrrev_b32_e32 v28, 16, v28                             // 00000000AE6C: 20383890
	v_cmp_u_f32_e64 s[78:79], v31, v31                         // 00000000AE70: D048004E 00023F1F
	v_bfe_u32 v248, v31, 16, 1                                 // 00000000AE78: D1C800F8 0205211F
	v_add3_u32 v248, v31, v248, v251                           // 00000000AE80: D1FF00F8 07EFF11F
	v_cndmask_b32_e64 v29, v248, v250, s[78:79]                // 00000000AE88: D100001D 013BF5F8
	v_and_or_b32 v172, v29, v249, v28                          // 00000000AE90: D20100AC 0473F31D
	v_mov_b32_e32 v30, v194                                    // 00000000AE98: 7E3C03C2
	v_mov_b32_e32 v31, v195                                    // 00000000AE9C: 7E3E03C3
	v_cmp_u_f32_e64 s[78:79], v30, v30                         // 00000000AEA0: D048004E 00023D1E
	v_bfe_u32 v248, v30, 16, 1                                 // 00000000AEA8: D1C800F8 0205211E
	v_add3_u32 v248, v30, v248, v251                           // 00000000AEB0: D1FF00F8 07EFF11E
	v_cndmask_b32_e64 v28, v248, v250, s[78:79]                // 00000000AEB8: D100001C 013BF5F8
	v_lshrrev_b32_e32 v28, 16, v28                             // 00000000AEC0: 20383890
	v_cmp_u_f32_e64 s[78:79], v31, v31                         // 00000000AEC4: D048004E 00023F1F
	v_bfe_u32 v248, v31, 16, 1                                 // 00000000AECC: D1C800F8 0205211F
	v_add3_u32 v248, v31, v248, v251                           // 00000000AED4: D1FF00F8 07EFF11F
	v_cndmask_b32_e64 v29, v248, v250, s[78:79]                // 00000000AEDC: D100001D 013BF5F8
	v_and_or_b32 v173, v29, v249, v28                          // 00000000AEE4: D20100AD 0473F31D
	v_mov_b32_e32 v30, v196                                    // 00000000AEEC: 7E3C03C4
	v_mov_b32_e32 v31, v197                                    // 00000000AEF0: 7E3E03C5
	v_cmp_u_f32_e64 s[78:79], v30, v30                         // 00000000AEF4: D048004E 00023D1E
	v_bfe_u32 v248, v30, 16, 1                                 // 00000000AEFC: D1C800F8 0205211E
	v_add3_u32 v248, v30, v248, v251                           // 00000000AF04: D1FF00F8 07EFF11E
	v_cndmask_b32_e64 v28, v248, v250, s[78:79]                // 00000000AF0C: D100001C 013BF5F8
	v_lshrrev_b32_e32 v28, 16, v28                             // 00000000AF14: 20383890
	v_cmp_u_f32_e64 s[78:79], v31, v31                         // 00000000AF18: D048004E 00023F1F
	v_bfe_u32 v248, v31, 16, 1                                 // 00000000AF20: D1C800F8 0205211F
	v_add3_u32 v248, v31, v248, v251                           // 00000000AF28: D1FF00F8 07EFF11F
	v_cndmask_b32_e64 v29, v248, v250, s[78:79]                // 00000000AF30: D100001D 013BF5F8
	v_and_or_b32 v174, v29, v249, v28                          // 00000000AF38: D20100AE 0473F31D
	v_mov_b32_e32 v30, v198                                    // 00000000AF40: 7E3C03C6
	v_mov_b32_e32 v31, v199                                    // 00000000AF44: 7E3E03C7
	v_cmp_u_f32_e64 s[78:79], v30, v30                         // 00000000AF48: D048004E 00023D1E
	v_bfe_u32 v248, v30, 16, 1                                 // 00000000AF50: D1C800F8 0205211E
	v_add3_u32 v248, v30, v248, v251                           // 00000000AF58: D1FF00F8 07EFF11E
	v_cndmask_b32_e64 v28, v248, v250, s[78:79]                // 00000000AF60: D100001C 013BF5F8
	v_lshrrev_b32_e32 v28, 16, v28                             // 00000000AF68: 20383890
	v_cmp_u_f32_e64 s[78:79], v31, v31                         // 00000000AF6C: D048004E 00023F1F
	v_bfe_u32 v248, v31, 16, 1                                 // 00000000AF74: D1C800F8 0205211F
	v_add3_u32 v248, v31, v248, v251                           // 00000000AF7C: D1FF00F8 07EFF11F
	v_cndmask_b32_e64 v29, v248, v250, s[78:79]                // 00000000AF84: D100001D 013BF5F8
	v_and_or_b32 v175, v29, v249, v28                          // 00000000AF8C: D20100AF 0473F31D
	v_mov_b32_e32 v30, v200                                    // 00000000AF94: 7E3C03C8
	v_mov_b32_e32 v31, v201                                    // 00000000AF98: 7E3E03C9
	v_cmp_u_f32_e64 s[78:79], v30, v30                         // 00000000AF9C: D048004E 00023D1E
	v_bfe_u32 v248, v30, 16, 1                                 // 00000000AFA4: D1C800F8 0205211E
	v_add3_u32 v248, v30, v248, v251                           // 00000000AFAC: D1FF00F8 07EFF11E
	v_cndmask_b32_e64 v28, v248, v250, s[78:79]                // 00000000AFB4: D100001C 013BF5F8
	v_lshrrev_b32_e32 v28, 16, v28                             // 00000000AFBC: 20383890
	v_cmp_u_f32_e64 s[78:79], v31, v31                         // 00000000AFC0: D048004E 00023F1F
	v_bfe_u32 v248, v31, 16, 1                                 // 00000000AFC8: D1C800F8 0205211F
	v_add3_u32 v248, v31, v248, v251                           // 00000000AFD0: D1FF00F8 07EFF11F
	v_cndmask_b32_e64 v29, v248, v250, s[78:79]                // 00000000AFD8: D100001D 013BF5F8
	v_and_or_b32 v176, v29, v249, v28                          // 00000000AFE0: D20100B0 0473F31D
	v_mov_b32_e32 v30, v202                                    // 00000000AFE8: 7E3C03CA
	v_mov_b32_e32 v31, v203                                    // 00000000AFEC: 7E3E03CB
	v_cmp_u_f32_e64 s[78:79], v30, v30                         // 00000000AFF0: D048004E 00023D1E
	v_bfe_u32 v248, v30, 16, 1                                 // 00000000AFF8: D1C800F8 0205211E
	v_add3_u32 v248, v30, v248, v251                           // 00000000B000: D1FF00F8 07EFF11E
	v_cndmask_b32_e64 v28, v248, v250, s[78:79]                // 00000000B008: D100001C 013BF5F8
	v_lshrrev_b32_e32 v28, 16, v28                             // 00000000B010: 20383890
	v_cmp_u_f32_e64 s[78:79], v31, v31                         // 00000000B014: D048004E 00023F1F
	v_bfe_u32 v248, v31, 16, 1                                 // 00000000B01C: D1C800F8 0205211F
	v_add3_u32 v248, v31, v248, v251                           // 00000000B024: D1FF00F8 07EFF11F
	v_cndmask_b32_e64 v29, v248, v250, s[78:79]                // 00000000B02C: D100001D 013BF5F8
	v_and_or_b32 v177, v29, v249, v28                          // 00000000B034: D20100B1 0473F31D
	v_mov_b32_e32 v30, v204                                    // 00000000B03C: 7E3C03CC
	v_mov_b32_e32 v31, v205                                    // 00000000B040: 7E3E03CD
	v_cmp_u_f32_e64 s[78:79], v30, v30                         // 00000000B044: D048004E 00023D1E
	v_bfe_u32 v248, v30, 16, 1                                 // 00000000B04C: D1C800F8 0205211E
	v_add3_u32 v248, v30, v248, v251                           // 00000000B054: D1FF00F8 07EFF11E
	v_cndmask_b32_e64 v28, v248, v250, s[78:79]                // 00000000B05C: D100001C 013BF5F8
	v_lshrrev_b32_e32 v28, 16, v28                             // 00000000B064: 20383890
	v_cmp_u_f32_e64 s[78:79], v31, v31                         // 00000000B068: D048004E 00023F1F
	v_bfe_u32 v248, v31, 16, 1                                 // 00000000B070: D1C800F8 0205211F
	v_add3_u32 v248, v31, v248, v251                           // 00000000B078: D1FF00F8 07EFF11F
	v_cndmask_b32_e64 v29, v248, v250, s[78:79]                // 00000000B080: D100001D 013BF5F8
	v_and_or_b32 v178, v29, v249, v28                          // 00000000B088: D20100B2 0473F31D
	v_mov_b32_e32 v30, v206                                    // 00000000B090: 7E3C03CE
	v_mov_b32_e32 v31, v207                                    // 00000000B094: 7E3E03CF
	v_cmp_u_f32_e64 s[78:79], v30, v30                         // 00000000B098: D048004E 00023D1E
	v_bfe_u32 v248, v30, 16, 1                                 // 00000000B0A0: D1C800F8 0205211E
	v_add3_u32 v248, v30, v248, v251                           // 00000000B0A8: D1FF00F8 07EFF11E
	v_cndmask_b32_e64 v28, v248, v250, s[78:79]                // 00000000B0B0: D100001C 013BF5F8
	v_lshrrev_b32_e32 v28, 16, v28                             // 00000000B0B8: 20383890
	v_cmp_u_f32_e64 s[78:79], v31, v31                         // 00000000B0BC: D048004E 00023F1F
	v_bfe_u32 v248, v31, 16, 1                                 // 00000000B0C4: D1C800F8 0205211F
	v_add3_u32 v248, v31, v248, v251                           // 00000000B0CC: D1FF00F8 07EFF11F
	v_cndmask_b32_e64 v29, v248, v250, s[78:79]                // 00000000B0D4: D100001D 013BF5F8
	v_and_or_b32 v179, v29, v249, v28                          // 00000000B0DC: D20100B3 0473F31D
	v_mov_b32_e32 v30, v208                                    // 00000000B0E4: 7E3C03D0
	v_mov_b32_e32 v31, v209                                    // 00000000B0E8: 7E3E03D1
	v_cmp_u_f32_e64 s[78:79], v30, v30                         // 00000000B0EC: D048004E 00023D1E
	v_bfe_u32 v248, v30, 16, 1                                 // 00000000B0F4: D1C800F8 0205211E
	v_add3_u32 v248, v30, v248, v251                           // 00000000B0FC: D1FF00F8 07EFF11E
	v_cndmask_b32_e64 v28, v248, v250, s[78:79]                // 00000000B104: D100001C 013BF5F8
	v_lshrrev_b32_e32 v28, 16, v28                             // 00000000B10C: 20383890
	v_cmp_u_f32_e64 s[78:79], v31, v31                         // 00000000B110: D048004E 00023F1F
	v_bfe_u32 v248, v31, 16, 1                                 // 00000000B118: D1C800F8 0205211F
	v_add3_u32 v248, v31, v248, v251                           // 00000000B120: D1FF00F8 07EFF11F
	v_cndmask_b32_e64 v29, v248, v250, s[78:79]                // 00000000B128: D100001D 013BF5F8
	v_and_or_b32 v180, v29, v249, v28                          // 00000000B130: D20100B4 0473F31D
	v_mov_b32_e32 v30, v210                                    // 00000000B138: 7E3C03D2
	v_mov_b32_e32 v31, v211                                    // 00000000B13C: 7E3E03D3
	v_cmp_u_f32_e64 s[78:79], v30, v30                         // 00000000B140: D048004E 00023D1E
	v_bfe_u32 v248, v30, 16, 1                                 // 00000000B148: D1C800F8 0205211E
	v_add3_u32 v248, v30, v248, v251                           // 00000000B150: D1FF00F8 07EFF11E
	v_cndmask_b32_e64 v28, v248, v250, s[78:79]                // 00000000B158: D100001C 013BF5F8
	v_lshrrev_b32_e32 v28, 16, v28                             // 00000000B160: 20383890
	v_cmp_u_f32_e64 s[78:79], v31, v31                         // 00000000B164: D048004E 00023F1F
	v_bfe_u32 v248, v31, 16, 1                                 // 00000000B16C: D1C800F8 0205211F
	v_add3_u32 v248, v31, v248, v251                           // 00000000B174: D1FF00F8 07EFF11F
	v_cndmask_b32_e64 v29, v248, v250, s[78:79]                // 00000000B17C: D100001D 013BF5F8
	v_and_or_b32 v181, v29, v249, v28                          // 00000000B184: D20100B5 0473F31D
	v_mov_b32_e32 v30, v212                                    // 00000000B18C: 7E3C03D4
	v_mov_b32_e32 v31, v213                                    // 00000000B190: 7E3E03D5
	v_cmp_u_f32_e64 s[78:79], v30, v30                         // 00000000B194: D048004E 00023D1E
	v_bfe_u32 v248, v30, 16, 1                                 // 00000000B19C: D1C800F8 0205211E
	v_add3_u32 v248, v30, v248, v251                           // 00000000B1A4: D1FF00F8 07EFF11E
	v_cndmask_b32_e64 v28, v248, v250, s[78:79]                // 00000000B1AC: D100001C 013BF5F8
	v_lshrrev_b32_e32 v28, 16, v28                             // 00000000B1B4: 20383890
	v_cmp_u_f32_e64 s[78:79], v31, v31                         // 00000000B1B8: D048004E 00023F1F
	v_bfe_u32 v248, v31, 16, 1                                 // 00000000B1C0: D1C800F8 0205211F
	v_add3_u32 v248, v31, v248, v251                           // 00000000B1C8: D1FF00F8 07EFF11F
	v_cndmask_b32_e64 v29, v248, v250, s[78:79]                // 00000000B1D0: D100001D 013BF5F8
	v_and_or_b32 v182, v29, v249, v28                          // 00000000B1D8: D20100B6 0473F31D
	v_mov_b32_e32 v30, v214                                    // 00000000B1E0: 7E3C03D6
	v_mov_b32_e32 v31, v215                                    // 00000000B1E4: 7E3E03D7
	v_cmp_u_f32_e64 s[78:79], v30, v30                         // 00000000B1E8: D048004E 00023D1E
	v_bfe_u32 v248, v30, 16, 1                                 // 00000000B1F0: D1C800F8 0205211E
	v_add3_u32 v248, v30, v248, v251                           // 00000000B1F8: D1FF00F8 07EFF11E
	v_cndmask_b32_e64 v28, v248, v250, s[78:79]                // 00000000B200: D100001C 013BF5F8
	v_lshrrev_b32_e32 v28, 16, v28                             // 00000000B208: 20383890
	v_cmp_u_f32_e64 s[78:79], v31, v31                         // 00000000B20C: D048004E 00023F1F
	v_bfe_u32 v248, v31, 16, 1                                 // 00000000B214: D1C800F8 0205211F
	v_add3_u32 v248, v31, v248, v251                           // 00000000B21C: D1FF00F8 07EFF11F
	v_cndmask_b32_e64 v29, v248, v250, s[78:79]                // 00000000B224: D100001D 013BF5F8
	v_and_or_b32 v183, v29, v249, v28                          // 00000000B22C: D20100B7 0473F31D
	ds_write_b64 v25, v[168:169] offset:16896                  // 00000000B234: D89A4200 0000A819
	ds_write_b64 v25, v[170:171] offset:17424                  // 00000000B23C: D89A4410 0000AA19
	ds_write_b64 v25, v[172:173] offset:17952                  // 00000000B244: D89A4620 0000AC19
	ds_write_b64 v25, v[174:175] offset:18480                  // 00000000B24C: D89A4830 0000AE19
	ds_write_b64 v25, v[176:177] offset:19008                  // 00000000B254: D89A4A40 0000B019
	ds_write_b64 v25, v[178:179] offset:19536                  // 00000000B25C: D89A4C50 0000B219
	ds_write_b64 v25, v[180:181] offset:20064                  // 00000000B264: D89A4E60 0000B419
	ds_write_b64 v25, v[182:183] offset:20592                  // 00000000B26C: D89A5070 0000B619
	s_waitcnt lgkmcnt(0)                                       // 00000000B274: BF8CC07F
	s_barrier                                                  // 00000000B278: BF8A0000
	ds_read_b64 v[168:169], v24 offset:16896                   // 00000000B27C: D8EC4200 A8000018
	ds_read_b64 v[170:171], v24 offset:17024                   // 00000000B284: D8EC4280 AA000018
	ds_read_b64 v[172:173], v24 offset:16928                   // 00000000B28C: D8EC4220 AC000018
	ds_read_b64 v[174:175], v24 offset:17056                   // 00000000B294: D8EC42A0 AE000018
	ds_read_b64 v[176:177], v24 offset:16960                   // 00000000B29C: D8EC4240 B0000018
	ds_read_b64 v[178:179], v24 offset:17088                   // 00000000B2A4: D8EC42C0 B2000018
	ds_read_b64 v[180:181], v24 offset:16992                   // 00000000B2AC: D8EC4260 B4000018
	ds_read_b64 v[182:183], v24 offset:17120                   // 00000000B2B4: D8EC42E0 B6000018
	s_waitcnt lgkmcnt(0)                                       // 00000000B2BC: BF8CC07F
	s_mov_b32 s70, s53                                         // 00000000B2C0: BEC60035
	buffer_store_dwordx4 v[168:171], v6, s[40:43], 0 idxen     // 00000000B2C4: E07C2000 800AA806
	v_add_u32_e32 v6, s70, v6                                  // 00000000B2CC: 680C0C46
	buffer_store_dwordx4 v[172:175], v6, s[40:43], 0 idxen     // 00000000B2D0: E07C2000 800AAC06
	v_add_u32_e32 v6, s70, v6                                  // 00000000B2D8: 680C0C46
	buffer_store_dwordx4 v[176:179], v6, s[40:43], 0 idxen     // 00000000B2DC: E07C2000 800AB006
	v_add_u32_e32 v6, s70, v6                                  // 00000000B2E4: 680C0C46
	buffer_store_dwordx4 v[180:183], v6, s[40:43], 0 idxen     // 00000000B2E8: E07C2000 800AB406
	v_add_u32_e32 v6, s70, v6                                  // 00000000B2F0: 680C0C46
	s_mul_i32 s60, 12, s70                                     // 00000000B2F4: 923C468C
	v_add_u32_e32 v6, s60, v6                                  // 00000000B2F8: 680C0C3C
	s_cmp_ge_i32 2, s72                                        // 00000000B2FC: BF034882
	s_cbranch_scc1 label_1ED9                                  // 00000000B300: BF850184
	v_mov_b32_e32 v30, v216                                    // 00000000B304: 7E3C03D8
	v_mov_b32_e32 v31, v217                                    // 00000000B308: 7E3E03D9
	v_cmp_u_f32_e64 s[78:79], v30, v30                         // 00000000B30C: D048004E 00023D1E
	v_bfe_u32 v248, v30, 16, 1                                 // 00000000B314: D1C800F8 0205211E
	v_add3_u32 v248, v30, v248, v251                           // 00000000B31C: D1FF00F8 07EFF11E
	v_cndmask_b32_e64 v28, v248, v250, s[78:79]                // 00000000B324: D100001C 013BF5F8
	v_lshrrev_b32_e32 v28, 16, v28                             // 00000000B32C: 20383890
	v_cmp_u_f32_e64 s[78:79], v31, v31                         // 00000000B330: D048004E 00023F1F
	v_bfe_u32 v248, v31, 16, 1                                 // 00000000B338: D1C800F8 0205211F
	v_add3_u32 v248, v31, v248, v251                           // 00000000B340: D1FF00F8 07EFF11F
	v_cndmask_b32_e64 v29, v248, v250, s[78:79]                // 00000000B348: D100001D 013BF5F8
	v_and_or_b32 v184, v29, v249, v28                          // 00000000B350: D20100B8 0473F31D
	v_mov_b32_e32 v30, v218                                    // 00000000B358: 7E3C03DA
	v_mov_b32_e32 v31, v219                                    // 00000000B35C: 7E3E03DB
	v_cmp_u_f32_e64 s[78:79], v30, v30                         // 00000000B360: D048004E 00023D1E
	v_bfe_u32 v248, v30, 16, 1                                 // 00000000B368: D1C800F8 0205211E
	v_add3_u32 v248, v30, v248, v251                           // 00000000B370: D1FF00F8 07EFF11E
	v_cndmask_b32_e64 v28, v248, v250, s[78:79]                // 00000000B378: D100001C 013BF5F8
	v_lshrrev_b32_e32 v28, 16, v28                             // 00000000B380: 20383890
	v_cmp_u_f32_e64 s[78:79], v31, v31                         // 00000000B384: D048004E 00023F1F
	v_bfe_u32 v248, v31, 16, 1                                 // 00000000B38C: D1C800F8 0205211F
	v_add3_u32 v248, v31, v248, v251                           // 00000000B394: D1FF00F8 07EFF11F
	v_cndmask_b32_e64 v29, v248, v250, s[78:79]                // 00000000B39C: D100001D 013BF5F8
	v_and_or_b32 v185, v29, v249, v28                          // 00000000B3A4: D20100B9 0473F31D
	v_mov_b32_e32 v30, v220                                    // 00000000B3AC: 7E3C03DC
	v_mov_b32_e32 v31, v221                                    // 00000000B3B0: 7E3E03DD
	v_cmp_u_f32_e64 s[78:79], v30, v30                         // 00000000B3B4: D048004E 00023D1E
	v_bfe_u32 v248, v30, 16, 1                                 // 00000000B3BC: D1C800F8 0205211E
	v_add3_u32 v248, v30, v248, v251                           // 00000000B3C4: D1FF00F8 07EFF11E
	v_cndmask_b32_e64 v28, v248, v250, s[78:79]                // 00000000B3CC: D100001C 013BF5F8
	v_lshrrev_b32_e32 v28, 16, v28                             // 00000000B3D4: 20383890
	v_cmp_u_f32_e64 s[78:79], v31, v31                         // 00000000B3D8: D048004E 00023F1F
	v_bfe_u32 v248, v31, 16, 1                                 // 00000000B3E0: D1C800F8 0205211F
	v_add3_u32 v248, v31, v248, v251                           // 00000000B3E8: D1FF00F8 07EFF11F
	v_cndmask_b32_e64 v29, v248, v250, s[78:79]                // 00000000B3F0: D100001D 013BF5F8
	v_and_or_b32 v186, v29, v249, v28                          // 00000000B3F8: D20100BA 0473F31D
	v_mov_b32_e32 v30, v222                                    // 00000000B400: 7E3C03DE
	v_mov_b32_e32 v31, v223                                    // 00000000B404: 7E3E03DF
	v_cmp_u_f32_e64 s[78:79], v30, v30                         // 00000000B408: D048004E 00023D1E
	v_bfe_u32 v248, v30, 16, 1                                 // 00000000B410: D1C800F8 0205211E
	v_add3_u32 v248, v30, v248, v251                           // 00000000B418: D1FF00F8 07EFF11E
	v_cndmask_b32_e64 v28, v248, v250, s[78:79]                // 00000000B420: D100001C 013BF5F8
	v_lshrrev_b32_e32 v28, 16, v28                             // 00000000B428: 20383890
	v_cmp_u_f32_e64 s[78:79], v31, v31                         // 00000000B42C: D048004E 00023F1F
	v_bfe_u32 v248, v31, 16, 1                                 // 00000000B434: D1C800F8 0205211F
	v_add3_u32 v248, v31, v248, v251                           // 00000000B43C: D1FF00F8 07EFF11F
	v_cndmask_b32_e64 v29, v248, v250, s[78:79]                // 00000000B444: D100001D 013BF5F8
	v_and_or_b32 v187, v29, v249, v28                          // 00000000B44C: D20100BB 0473F31D
	v_mov_b32_e32 v30, v224                                    // 00000000B454: 7E3C03E0
	v_mov_b32_e32 v31, v225                                    // 00000000B458: 7E3E03E1
	v_cmp_u_f32_e64 s[78:79], v30, v30                         // 00000000B45C: D048004E 00023D1E
	v_bfe_u32 v248, v30, 16, 1                                 // 00000000B464: D1C800F8 0205211E
	v_add3_u32 v248, v30, v248, v251                           // 00000000B46C: D1FF00F8 07EFF11E
	v_cndmask_b32_e64 v28, v248, v250, s[78:79]                // 00000000B474: D100001C 013BF5F8
	v_lshrrev_b32_e32 v28, 16, v28                             // 00000000B47C: 20383890
	v_cmp_u_f32_e64 s[78:79], v31, v31                         // 00000000B480: D048004E 00023F1F
	v_bfe_u32 v248, v31, 16, 1                                 // 00000000B488: D1C800F8 0205211F
	v_add3_u32 v248, v31, v248, v251                           // 00000000B490: D1FF00F8 07EFF11F
	v_cndmask_b32_e64 v29, v248, v250, s[78:79]                // 00000000B498: D100001D 013BF5F8
	v_and_or_b32 v188, v29, v249, v28                          // 00000000B4A0: D20100BC 0473F31D
	v_mov_b32_e32 v30, v226                                    // 00000000B4A8: 7E3C03E2
	v_mov_b32_e32 v31, v227                                    // 00000000B4AC: 7E3E03E3
	v_cmp_u_f32_e64 s[78:79], v30, v30                         // 00000000B4B0: D048004E 00023D1E
	v_bfe_u32 v248, v30, 16, 1                                 // 00000000B4B8: D1C800F8 0205211E
	v_add3_u32 v248, v30, v248, v251                           // 00000000B4C0: D1FF00F8 07EFF11E
	v_cndmask_b32_e64 v28, v248, v250, s[78:79]                // 00000000B4C8: D100001C 013BF5F8
	v_lshrrev_b32_e32 v28, 16, v28                             // 00000000B4D0: 20383890
	v_cmp_u_f32_e64 s[78:79], v31, v31                         // 00000000B4D4: D048004E 00023F1F
	v_bfe_u32 v248, v31, 16, 1                                 // 00000000B4DC: D1C800F8 0205211F
	v_add3_u32 v248, v31, v248, v251                           // 00000000B4E4: D1FF00F8 07EFF11F
	v_cndmask_b32_e64 v29, v248, v250, s[78:79]                // 00000000B4EC: D100001D 013BF5F8
	v_and_or_b32 v189, v29, v249, v28                          // 00000000B4F4: D20100BD 0473F31D
	v_mov_b32_e32 v30, v228                                    // 00000000B4FC: 7E3C03E4
	v_mov_b32_e32 v31, v229                                    // 00000000B500: 7E3E03E5
	v_cmp_u_f32_e64 s[78:79], v30, v30                         // 00000000B504: D048004E 00023D1E
	v_bfe_u32 v248, v30, 16, 1                                 // 00000000B50C: D1C800F8 0205211E
	v_add3_u32 v248, v30, v248, v251                           // 00000000B514: D1FF00F8 07EFF11E
	v_cndmask_b32_e64 v28, v248, v250, s[78:79]                // 00000000B51C: D100001C 013BF5F8
	v_lshrrev_b32_e32 v28, 16, v28                             // 00000000B524: 20383890
	v_cmp_u_f32_e64 s[78:79], v31, v31                         // 00000000B528: D048004E 00023F1F
	v_bfe_u32 v248, v31, 16, 1                                 // 00000000B530: D1C800F8 0205211F
	v_add3_u32 v248, v31, v248, v251                           // 00000000B538: D1FF00F8 07EFF11F
	v_cndmask_b32_e64 v29, v248, v250, s[78:79]                // 00000000B540: D100001D 013BF5F8
	v_and_or_b32 v190, v29, v249, v28                          // 00000000B548: D20100BE 0473F31D
	v_mov_b32_e32 v30, v230                                    // 00000000B550: 7E3C03E6
	v_mov_b32_e32 v31, v231                                    // 00000000B554: 7E3E03E7
	v_cmp_u_f32_e64 s[78:79], v30, v30                         // 00000000B558: D048004E 00023D1E
	v_bfe_u32 v248, v30, 16, 1                                 // 00000000B560: D1C800F8 0205211E
	v_add3_u32 v248, v30, v248, v251                           // 00000000B568: D1FF00F8 07EFF11E
	v_cndmask_b32_e64 v28, v248, v250, s[78:79]                // 00000000B570: D100001C 013BF5F8
	v_lshrrev_b32_e32 v28, 16, v28                             // 00000000B578: 20383890
	v_cmp_u_f32_e64 s[78:79], v31, v31                         // 00000000B57C: D048004E 00023F1F
	v_bfe_u32 v248, v31, 16, 1                                 // 00000000B584: D1C800F8 0205211F
	v_add3_u32 v248, v31, v248, v251                           // 00000000B58C: D1FF00F8 07EFF11F
	v_cndmask_b32_e64 v29, v248, v250, s[78:79]                // 00000000B594: D100001D 013BF5F8
	v_and_or_b32 v191, v29, v249, v28                          // 00000000B59C: D20100BF 0473F31D
	v_mov_b32_e32 v30, v232                                    // 00000000B5A4: 7E3C03E8
	v_mov_b32_e32 v31, v233                                    // 00000000B5A8: 7E3E03E9
	v_cmp_u_f32_e64 s[78:79], v30, v30                         // 00000000B5AC: D048004E 00023D1E
	v_bfe_u32 v248, v30, 16, 1                                 // 00000000B5B4: D1C800F8 0205211E
	v_add3_u32 v248, v30, v248, v251                           // 00000000B5BC: D1FF00F8 07EFF11E
	v_cndmask_b32_e64 v28, v248, v250, s[78:79]                // 00000000B5C4: D100001C 013BF5F8
	v_lshrrev_b32_e32 v28, 16, v28                             // 00000000B5CC: 20383890
	v_cmp_u_f32_e64 s[78:79], v31, v31                         // 00000000B5D0: D048004E 00023F1F
	v_bfe_u32 v248, v31, 16, 1                                 // 00000000B5D8: D1C800F8 0205211F
	v_add3_u32 v248, v31, v248, v251                           // 00000000B5E0: D1FF00F8 07EFF11F
	v_cndmask_b32_e64 v29, v248, v250, s[78:79]                // 00000000B5E8: D100001D 013BF5F8
	v_and_or_b32 v192, v29, v249, v28                          // 00000000B5F0: D20100C0 0473F31D
	v_mov_b32_e32 v30, v234                                    // 00000000B5F8: 7E3C03EA
	v_mov_b32_e32 v31, v235                                    // 00000000B5FC: 7E3E03EB
	v_cmp_u_f32_e64 s[78:79], v30, v30                         // 00000000B600: D048004E 00023D1E
	v_bfe_u32 v248, v30, 16, 1                                 // 00000000B608: D1C800F8 0205211E
	v_add3_u32 v248, v30, v248, v251                           // 00000000B610: D1FF00F8 07EFF11E
	v_cndmask_b32_e64 v28, v248, v250, s[78:79]                // 00000000B618: D100001C 013BF5F8
	v_lshrrev_b32_e32 v28, 16, v28                             // 00000000B620: 20383890
	v_cmp_u_f32_e64 s[78:79], v31, v31                         // 00000000B624: D048004E 00023F1F
	v_bfe_u32 v248, v31, 16, 1                                 // 00000000B62C: D1C800F8 0205211F
	v_add3_u32 v248, v31, v248, v251                           // 00000000B634: D1FF00F8 07EFF11F
	v_cndmask_b32_e64 v29, v248, v250, s[78:79]                // 00000000B63C: D100001D 013BF5F8
	v_and_or_b32 v193, v29, v249, v28                          // 00000000B644: D20100C1 0473F31D
	v_mov_b32_e32 v30, v236                                    // 00000000B64C: 7E3C03EC
	v_mov_b32_e32 v31, v237                                    // 00000000B650: 7E3E03ED
	v_cmp_u_f32_e64 s[78:79], v30, v30                         // 00000000B654: D048004E 00023D1E
	v_bfe_u32 v248, v30, 16, 1                                 // 00000000B65C: D1C800F8 0205211E
	v_add3_u32 v248, v30, v248, v251                           // 00000000B664: D1FF00F8 07EFF11E
	v_cndmask_b32_e64 v28, v248, v250, s[78:79]                // 00000000B66C: D100001C 013BF5F8
	v_lshrrev_b32_e32 v28, 16, v28                             // 00000000B674: 20383890
	v_cmp_u_f32_e64 s[78:79], v31, v31                         // 00000000B678: D048004E 00023F1F
	v_bfe_u32 v248, v31, 16, 1                                 // 00000000B680: D1C800F8 0205211F
	v_add3_u32 v248, v31, v248, v251                           // 00000000B688: D1FF00F8 07EFF11F
	v_cndmask_b32_e64 v29, v248, v250, s[78:79]                // 00000000B690: D100001D 013BF5F8
	v_and_or_b32 v194, v29, v249, v28                          // 00000000B698: D20100C2 0473F31D
	v_mov_b32_e32 v30, v238                                    // 00000000B6A0: 7E3C03EE
	v_mov_b32_e32 v31, v239                                    // 00000000B6A4: 7E3E03EF
	v_cmp_u_f32_e64 s[78:79], v30, v30                         // 00000000B6A8: D048004E 00023D1E
	v_bfe_u32 v248, v30, 16, 1                                 // 00000000B6B0: D1C800F8 0205211E
	v_add3_u32 v248, v30, v248, v251                           // 00000000B6B8: D1FF00F8 07EFF11E
	v_cndmask_b32_e64 v28, v248, v250, s[78:79]                // 00000000B6C0: D100001C 013BF5F8
	v_lshrrev_b32_e32 v28, 16, v28                             // 00000000B6C8: 20383890
	v_cmp_u_f32_e64 s[78:79], v31, v31                         // 00000000B6CC: D048004E 00023F1F
	v_bfe_u32 v248, v31, 16, 1                                 // 00000000B6D4: D1C800F8 0205211F
	v_add3_u32 v248, v31, v248, v251                           // 00000000B6DC: D1FF00F8 07EFF11F
	v_cndmask_b32_e64 v29, v248, v250, s[78:79]                // 00000000B6E4: D100001D 013BF5F8
	v_and_or_b32 v195, v29, v249, v28                          // 00000000B6EC: D20100C3 0473F31D
	v_mov_b32_e32 v30, v240                                    // 00000000B6F4: 7E3C03F0
	v_mov_b32_e32 v31, v241                                    // 00000000B6F8: 7E3E03F1
	v_cmp_u_f32_e64 s[78:79], v30, v30                         // 00000000B6FC: D048004E 00023D1E
	v_bfe_u32 v248, v30, 16, 1                                 // 00000000B704: D1C800F8 0205211E
	v_add3_u32 v248, v30, v248, v251                           // 00000000B70C: D1FF00F8 07EFF11E
	v_cndmask_b32_e64 v28, v248, v250, s[78:79]                // 00000000B714: D100001C 013BF5F8
	v_lshrrev_b32_e32 v28, 16, v28                             // 00000000B71C: 20383890
	v_cmp_u_f32_e64 s[78:79], v31, v31                         // 00000000B720: D048004E 00023F1F
	v_bfe_u32 v248, v31, 16, 1                                 // 00000000B728: D1C800F8 0205211F
	v_add3_u32 v248, v31, v248, v251                           // 00000000B730: D1FF00F8 07EFF11F
	v_cndmask_b32_e64 v29, v248, v250, s[78:79]                // 00000000B738: D100001D 013BF5F8
	v_and_or_b32 v196, v29, v249, v28                          // 00000000B740: D20100C4 0473F31D
	v_mov_b32_e32 v30, v242                                    // 00000000B748: 7E3C03F2
	v_mov_b32_e32 v31, v243                                    // 00000000B74C: 7E3E03F3
	v_cmp_u_f32_e64 s[78:79], v30, v30                         // 00000000B750: D048004E 00023D1E
	v_bfe_u32 v248, v30, 16, 1                                 // 00000000B758: D1C800F8 0205211E
	v_add3_u32 v248, v30, v248, v251                           // 00000000B760: D1FF00F8 07EFF11E
	v_cndmask_b32_e64 v28, v248, v250, s[78:79]                // 00000000B768: D100001C 013BF5F8
	v_lshrrev_b32_e32 v28, 16, v28                             // 00000000B770: 20383890
	v_cmp_u_f32_e64 s[78:79], v31, v31                         // 00000000B774: D048004E 00023F1F
	v_bfe_u32 v248, v31, 16, 1                                 // 00000000B77C: D1C800F8 0205211F
	v_add3_u32 v248, v31, v248, v251                           // 00000000B784: D1FF00F8 07EFF11F
	v_cndmask_b32_e64 v29, v248, v250, s[78:79]                // 00000000B78C: D100001D 013BF5F8
	v_and_or_b32 v197, v29, v249, v28                          // 00000000B794: D20100C5 0473F31D
	v_mov_b32_e32 v30, v244                                    // 00000000B79C: 7E3C03F4
	v_mov_b32_e32 v31, v245                                    // 00000000B7A0: 7E3E03F5
	v_cmp_u_f32_e64 s[78:79], v30, v30                         // 00000000B7A4: D048004E 00023D1E
	v_bfe_u32 v248, v30, 16, 1                                 // 00000000B7AC: D1C800F8 0205211E
	v_add3_u32 v248, v30, v248, v251                           // 00000000B7B4: D1FF00F8 07EFF11E
	v_cndmask_b32_e64 v28, v248, v250, s[78:79]                // 00000000B7BC: D100001C 013BF5F8
	v_lshrrev_b32_e32 v28, 16, v28                             // 00000000B7C4: 20383890
	v_cmp_u_f32_e64 s[78:79], v31, v31                         // 00000000B7C8: D048004E 00023F1F
	v_bfe_u32 v248, v31, 16, 1                                 // 00000000B7D0: D1C800F8 0205211F
	v_add3_u32 v248, v31, v248, v251                           // 00000000B7D8: D1FF00F8 07EFF11F
	v_cndmask_b32_e64 v29, v248, v250, s[78:79]                // 00000000B7E0: D100001D 013BF5F8
	v_and_or_b32 v198, v29, v249, v28                          // 00000000B7E8: D20100C6 0473F31D
	v_mov_b32_e32 v30, v246                                    // 00000000B7F0: 7E3C03F6
	v_mov_b32_e32 v31, v247                                    // 00000000B7F4: 7E3E03F7
	v_cmp_u_f32_e64 s[78:79], v30, v30                         // 00000000B7F8: D048004E 00023D1E
	v_bfe_u32 v248, v30, 16, 1                                 // 00000000B800: D1C800F8 0205211E
	v_add3_u32 v248, v30, v248, v251                           // 00000000B808: D1FF00F8 07EFF11E
	v_cndmask_b32_e64 v28, v248, v250, s[78:79]                // 00000000B810: D100001C 013BF5F8
	v_lshrrev_b32_e32 v28, 16, v28                             // 00000000B818: 20383890
	v_cmp_u_f32_e64 s[78:79], v31, v31                         // 00000000B81C: D048004E 00023F1F
	v_bfe_u32 v248, v31, 16, 1                                 // 00000000B824: D1C800F8 0205211F
	v_add3_u32 v248, v31, v248, v251                           // 00000000B82C: D1FF00F8 07EFF11F
	v_cndmask_b32_e64 v29, v248, v250, s[78:79]                // 00000000B834: D100001D 013BF5F8
	v_and_or_b32 v199, v29, v249, v28                          // 00000000B83C: D20100C7 0473F31D
	ds_write_b64 v25, v[184:185] offset:33792                  // 00000000B844: D89A8400 0000B819
	ds_write_b64 v25, v[186:187] offset:34320                  // 00000000B84C: D89A8610 0000BA19
	ds_write_b64 v25, v[188:189] offset:34848                  // 00000000B854: D89A8820 0000BC19
	ds_write_b64 v25, v[190:191] offset:35376                  // 00000000B85C: D89A8A30 0000BE19
	ds_write_b64 v25, v[192:193] offset:35904                  // 00000000B864: D89A8C40 0000C019
	ds_write_b64 v25, v[194:195] offset:36432                  // 00000000B86C: D89A8E50 0000C219
	ds_write_b64 v25, v[196:197] offset:36960                  // 00000000B874: D89A9060 0000C419
	ds_write_b64 v25, v[198:199] offset:37488                  // 00000000B87C: D89A9270 0000C619
	s_waitcnt lgkmcnt(0)                                       // 00000000B884: BF8CC07F
	s_barrier                                                  // 00000000B888: BF8A0000
	ds_read_b64 v[184:185], v24 offset:33792                   // 00000000B88C: D8EC8400 B8000018
	ds_read_b64 v[186:187], v24 offset:33920                   // 00000000B894: D8EC8480 BA000018
	ds_read_b64 v[188:189], v24 offset:33824                   // 00000000B89C: D8EC8420 BC000018
	ds_read_b64 v[190:191], v24 offset:33952                   // 00000000B8A4: D8EC84A0 BE000018
	ds_read_b64 v[192:193], v24 offset:33856                   // 00000000B8AC: D8EC8440 C0000018
	ds_read_b64 v[194:195], v24 offset:33984                   // 00000000B8B4: D8EC84C0 C2000018
	ds_read_b64 v[196:197], v24 offset:33888                   // 00000000B8BC: D8EC8460 C4000018
	ds_read_b64 v[198:199], v24 offset:34016                   // 00000000B8C4: D8EC84E0 C6000018
	s_waitcnt lgkmcnt(0)                                       // 00000000B8CC: BF8CC07F
	s_mov_b32 s70, s53                                         // 00000000B8D0: BEC60035
	buffer_store_dwordx4 v[184:187], v6, s[40:43], 0 idxen     // 00000000B8D4: E07C2000 800AB806
	v_add_u32_e32 v6, s70, v6                                  // 00000000B8DC: 680C0C46
	buffer_store_dwordx4 v[188:191], v6, s[40:43], 0 idxen     // 00000000B8E0: E07C2000 800ABC06
	v_add_u32_e32 v6, s70, v6                                  // 00000000B8E8: 680C0C46
	buffer_store_dwordx4 v[192:195], v6, s[40:43], 0 idxen     // 00000000B8EC: E07C2000 800AC006
	v_add_u32_e32 v6, s70, v6                                  // 00000000B8F4: 680C0C46
	buffer_store_dwordx4 v[196:199], v6, s[40:43], 0 idxen     // 00000000B8F8: E07C2000 800AC406
	v_add_u32_e32 v6, s70, v6                                  // 00000000B900: 680C0C46
	s_mul_i32 s60, 12, s70                                     // 00000000B904: 923C468C
	v_add_u32_e32 v6, s60, v6                                  // 00000000B908: 680C0C3C
	s_cmp_ge_i32 3, s72                                        // 00000000B90C: BF034883
	s_cbranch_scc1 label_1ED9                                  // 00000000B910: BF850000

000000000000b914 <label_1ED9>:
	s_waitcnt vmcnt(0) expcnt(0) lgkmcnt(0)                    // 00000000B914: BF8C0000
	s_sub_i32 s60, s77, 1                                      // 00000000B918: 81BC814D
	s_sub_i32 s2, s60, s2                                      // 00000000B91C: 8182023C
	s_addk_i32 s75, 0x1                                        // 00000000B920: B74B0001
	s_cmp_lt_i32 s75, s76                                      // 00000000B924: BF044C4B
	s_cbranch_scc1 label_0163                                  // 00000000B928: BF85E298

000000000000b92c <label_1EDF>:
	s_waitcnt vmcnt(0) expcnt(0) lgkmcnt(0)                    // 00000000B92C: BF8C0000
	s_endpgm                                                   // 00000000B930: BF810000
